;; amdgpu-corpus repo=pytorch/pytorch kind=compiled arch=gfx1250 opt=O3
	.amdgcn_target "amdgcn-amd-amdhsa--gfx1250"
	.amdhsa_code_object_version 6
	.section	.text._ZN2at6native12_GLOBAL__N_124searchsorted_cuda_kernelIhlEEvPT0_PKT_S7_PKllllbb,"axG",@progbits,_ZN2at6native12_GLOBAL__N_124searchsorted_cuda_kernelIhlEEvPT0_PKT_S7_PKllllbb,comdat
	.globl	_ZN2at6native12_GLOBAL__N_124searchsorted_cuda_kernelIhlEEvPT0_PKT_S7_PKllllbb ; -- Begin function _ZN2at6native12_GLOBAL__N_124searchsorted_cuda_kernelIhlEEvPT0_PKT_S7_PKllllbb
	.p2align	8
	.type	_ZN2at6native12_GLOBAL__N_124searchsorted_cuda_kernelIhlEEvPT0_PKT_S7_PKllllbb,@function
_ZN2at6native12_GLOBAL__N_124searchsorted_cuda_kernelIhlEEvPT0_PKT_S7_PKllllbb: ; @_ZN2at6native12_GLOBAL__N_124searchsorted_cuda_kernelIhlEEvPT0_PKT_S7_PKllllbb
; %bb.0:
	s_clause 0x1
	s_load_b32 s2, s[0:1], 0x4c
	s_load_b128 s[12:15], s[0:1], 0x30
	s_bfe_u32 s3, ttmp6, 0x4000c
	v_mov_b32_e32 v2, 0
	s_add_co_i32 s3, s3, 1
	s_and_b32 s4, ttmp6, 15
	s_mul_i32 s3, ttmp9, s3
	s_getreg_b32 s5, hwreg(HW_REG_IB_STS2, 6, 4)
	v_mov_b32_e32 v1, v2
	s_add_co_i32 s4, s4, s3
	s_wait_kmcnt 0x0
	s_and_b32 s2, s2, 0xffff
	s_cmp_eq_u32 s5, 0
	s_cselect_b32 s3, ttmp9, s4
	s_mov_b32 s4, exec_lo
	v_mad_nc_u64_u32 v[0:1], s2, s3, v[0:1]
	s_mov_b32 s3, 0
	s_delay_alu instid0(VALU_DEP_1)
	v_cmpx_gt_i64_e64 s[12:13], v[0:1]
	s_cbranch_execz .LBB0_28
; %bb.1:
	s_clause 0x2
	s_load_b128 s[16:19], s[0:1], 0x20
	s_load_b32 s14, s[0:1], 0x38
	s_load_b256 s[4:11], s[0:1], 0x0
	s_mov_b32 s21, s3
	s_mov_b32 s29, 0
	s_wait_kmcnt 0x0
	v_cvt_f32_u32_e32 v3, s16
	s_bitcmp1_b32 s14, 0
	v_cmp_gt_i64_e64 s28, s[18:19], 0
	s_cselect_b32 s15, -1, 0
	v_rcp_iflag_f32_e32 v3, v3
	s_xor_b32 s26, s15, -1
	s_bitcmp1_b32 s14, 8
	s_cselect_b32 s14, -1, 0
	v_cndmask_b32_e64 v18, 0, 1, s28
	s_xor_b32 s27, s14, -1
	s_delay_alu instid0(TRANS32_DEP_1)
	v_mul_f32_e32 v3, 0x4f7ffffe, v3
	s_cmp_lg_u64 s[10:11], 0
	s_add_nc_u64 s[14:15], s[0:1], 64
	s_cselect_b32 s1, -1, 0
	s_sub_co_i32 s0, 0, s16
	v_cvt_u32_f32_e32 v3, v3
	s_load_b32 s20, s[14:15], 0x0
	s_wait_xcnt 0x0
	s_mov_b64 s[14:15], 0xffffffff
	s_ashr_i32 s22, s17, 31
	v_mul_lo_u32 v4, s0, v3
	s_delay_alu instid0(VALU_DEP_1) | instskip(SKIP_2) | instid1(VALU_DEP_1)
	v_mul_hi_u32 v4, v3, v4
	s_wait_kmcnt 0x0
	s_mul_i32 s20, s20, s2
	v_add_nc_u32_e32 v19, v3, v4
	s_branch .LBB0_4
.LBB0_2:                                ;   in Loop: Header=BB0_4 Depth=1
	s_or_b32 exec_lo, exec_lo, s0
.LBB0_3:                                ;   in Loop: Header=BB0_4 Depth=1
	v_lshl_add_u64 v[6:7], v[0:1], 3, s[4:5]
	v_add_nc_u64_e32 v[0:1], s[20:21], v[0:1]
	s_delay_alu instid0(VALU_DEP_3) | instskip(NEXT) | instid1(VALU_DEP_2)
	v_sub_nc_u64_e32 v[4:5], v[8:9], v[4:5]
	v_cmp_le_i64_e32 vcc_lo, s[12:13], v[0:1]
	global_store_b64 v[6:7], v[4:5], off
	s_or_b32 s29, vcc_lo, s29
	s_wait_xcnt 0x0
	s_and_not1_b32 exec_lo, exec_lo, s29
	s_cbranch_execz .LBB0_28
.LBB0_4:                                ; =>This Loop Header: Depth=1
                                        ;     Child Loop BB0_14 Depth 2
                                        ;     Child Loop BB0_24 Depth 2
	v_mov_b64_e32 v[4:5], 0
	s_and_not1_b32 vcc_lo, exec_lo, s27
	s_cbranch_vccnz .LBB0_10
; %bb.5:                                ;   in Loop: Header=BB0_4 Depth=1
	s_wait_loadcnt 0x0
	v_or_b32_e32 v3, s17, v1
                                        ; implicit-def: $vgpr4_vgpr5
	s_mov_b32 s0, exec_lo
	s_delay_alu instid0(VALU_DEP_1)
	v_cmpx_ne_u64_e32 0, v[2:3]
	s_xor_b32 s30, exec_lo, s0
	s_cbranch_execz .LBB0_7
; %bb.6:                                ;   in Loop: Header=BB0_4 Depth=1
	s_mov_b32 s23, s22
	v_dual_mov_b32 v9, v2 :: v_dual_ashrrev_i32 v4, 31, v1
	s_add_nc_u64 s[24:25], s[16:17], s[22:23]
	s_delay_alu instid0(SALU_CYCLE_1) | instskip(NEXT) | instid1(VALU_DEP_1)
	s_xor_b64 s[24:25], s[24:25], s[22:23]
	v_mov_b32_e32 v5, v4
	s_cvt_f32_u32 s0, s24
	s_cvt_f32_u32 s2, s25
	s_sub_nc_u64 s[36:37], 0, s[24:25]
	s_delay_alu instid0(VALU_DEP_1) | instskip(NEXT) | instid1(SALU_CYCLE_1)
	v_add_nc_u64_e32 v[6:7], v[0:1], v[4:5]
	s_fmamk_f32 s0, s2, 0x4f800000, s0
	v_mov_b32_e32 v13, v2
	s_delay_alu instid0(SALU_CYCLE_2) | instskip(NEXT) | instid1(VALU_DEP_2)
	v_s_rcp_f32 s0, s0
	v_xor_b32_e32 v8, v6, v4
	s_delay_alu instid0(VALU_DEP_3) | instskip(SKIP_1) | instid1(TRANS32_DEP_1)
	v_dual_mov_b32 v17, v2 :: v_dual_bitop2_b32 v12, v7, v4 bitop3:0x14
	v_xor_b32_e32 v4, s22, v4
	s_mul_f32 s0, s0, 0x5f7ffffc
	s_delay_alu instid0(SALU_CYCLE_3) | instskip(NEXT) | instid1(SALU_CYCLE_3)
	s_mul_f32 s2, s0, 0x2f800000
	s_trunc_f32 s2, s2
	s_delay_alu instid0(SALU_CYCLE_3) | instskip(SKIP_1) | instid1(SALU_CYCLE_2)
	s_fmamk_f32 s0, s2, 0xcf800000, s0
	s_cvt_u32_f32 s35, s2
	s_cvt_u32_f32 s34, s0
	s_delay_alu instid0(SALU_CYCLE_3) | instskip(NEXT) | instid1(SALU_CYCLE_1)
	s_mul_u64 s[38:39], s[36:37], s[34:35]
	s_mul_hi_u32 s41, s34, s39
	s_mul_i32 s40, s34, s39
	s_mul_hi_u32 s2, s34, s38
	s_mul_i32 s23, s35, s38
	s_add_nc_u64 s[40:41], s[2:3], s[40:41]
	s_mul_hi_u32 s0, s35, s38
	s_mul_hi_u32 s31, s35, s39
	s_add_co_u32 s2, s40, s23
	s_add_co_ci_u32 s2, s41, s0
	s_mul_i32 s38, s35, s39
	s_add_co_ci_u32 s39, s31, 0
	s_delay_alu instid0(SALU_CYCLE_1) | instskip(NEXT) | instid1(SALU_CYCLE_1)
	s_add_nc_u64 s[38:39], s[2:3], s[38:39]
	s_add_co_u32 s34, s34, s38
	s_cselect_b32 s0, -1, 0
	s_delay_alu instid0(SALU_CYCLE_1) | instskip(SKIP_1) | instid1(SALU_CYCLE_1)
	s_cmp_lg_u32 s0, 0
	s_add_co_ci_u32 s35, s35, s39
	s_mul_u64 s[36:37], s[36:37], s[34:35]
	s_delay_alu instid0(SALU_CYCLE_1)
	s_mul_hi_u32 s39, s34, s37
	s_mul_i32 s38, s34, s37
	s_mul_hi_u32 s2, s34, s36
	s_mul_i32 s23, s35, s36
	s_add_nc_u64 s[38:39], s[2:3], s[38:39]
	s_mul_hi_u32 s0, s35, s36
	s_mul_hi_u32 s31, s35, s37
	s_add_co_u32 s2, s38, s23
	s_add_co_ci_u32 s2, s39, s0
	s_mul_i32 s36, s35, s37
	s_add_co_ci_u32 s37, s31, 0
	s_delay_alu instid0(SALU_CYCLE_1) | instskip(NEXT) | instid1(SALU_CYCLE_1)
	s_add_nc_u64 s[36:37], s[2:3], s[36:37]
	s_add_co_u32 s0, s34, s36
	s_cselect_b32 s2, -1, 0
	v_mul_hi_u32 v16, v8, s0
	s_cmp_lg_u32 s2, 0
	s_add_co_ci_u32 s2, s35, s37
	s_and_b64 s[34:35], s[0:1], s[14:15]
	v_mul_u64_e32 v[10:11], s[2:3], v[8:9]
	v_mul_u64_e32 v[6:7], s[34:35], v[12:13]
	;; [unrolled: 1-line block ×3, first 2 shown]
	s_delay_alu instid0(VALU_DEP_3) | instskip(NEXT) | instid1(VALU_DEP_1)
	v_add_nc_u64_e32 v[10:11], v[16:17], v[10:11]
	v_add_co_u32 v3, vcc_lo, v10, v6
	s_delay_alu instid0(VALU_DEP_2) | instskip(NEXT) | instid1(VALU_DEP_4)
	v_add_co_ci_u32_e32 v16, vcc_lo, v11, v7, vcc_lo
	v_add_co_ci_u32_e32 v15, vcc_lo, 0, v15, vcc_lo
	s_delay_alu instid0(VALU_DEP_1) | instskip(NEXT) | instid1(VALU_DEP_1)
	v_add_nc_u64_e32 v[6:7], v[16:17], v[14:15]
	v_mul_u64_e32 v[10:11], s[24:25], v[6:7]
	s_delay_alu instid0(VALU_DEP_1) | instskip(NEXT) | instid1(VALU_DEP_2)
	v_sub_nc_u32_e32 v3, v12, v11
	v_sub_co_u32 v5, vcc_lo, v8, v10
	s_delay_alu instid0(VALU_DEP_1) | instskip(NEXT) | instid1(VALU_DEP_3)
	v_sub_co_ci_u32_e64 v12, null, v12, v11, vcc_lo
	v_subrev_co_ci_u32_e64 v3, null, s25, v3, vcc_lo
	s_delay_alu instid0(VALU_DEP_3) | instskip(SKIP_1) | instid1(VALU_DEP_3)
	v_sub_co_u32 v8, s0, v5, s24
	v_add_nc_u64_e32 v[10:11], 1, v[6:7]
	v_subrev_co_ci_u32_e64 v3, null, 0, v3, s0
	s_delay_alu instid0(VALU_DEP_3) | instskip(SKIP_1) | instid1(VALU_DEP_3)
	v_cmp_le_u32_e32 vcc_lo, s24, v8
	v_cndmask_b32_e64 v8, 0, -1, vcc_lo
	v_cmp_le_u32_e32 vcc_lo, s25, v3
	v_cndmask_b32_e64 v9, 0, -1, vcc_lo
	;; [unrolled: 2-line block ×4, first 2 shown]
	v_cmp_eq_u32_e32 vcc_lo, s25, v3
	v_cndmask_b32_e32 v3, v9, v8, vcc_lo
	v_cmp_eq_u32_e32 vcc_lo, s25, v12
	v_add_nc_u64_e32 v[8:9], 2, v[6:7]
	v_cndmask_b32_e32 v5, v13, v5, vcc_lo
	s_delay_alu instid0(VALU_DEP_4) | instskip(NEXT) | instid1(VALU_DEP_2)
	v_cmp_ne_u32_e32 vcc_lo, 0, v3
	v_cmp_ne_u32_e64 s0, 0, v5
	s_delay_alu instid0(VALU_DEP_4) | instskip(NEXT) | instid1(VALU_DEP_1)
	v_dual_cndmask_b32 v3, v11, v9, vcc_lo :: v_dual_cndmask_b32 v5, v10, v8, vcc_lo
	v_dual_cndmask_b32 v6, v6, v5, s0 :: v_dual_mov_b32 v5, v4
	s_delay_alu instid0(VALU_DEP_1) | instskip(NEXT) | instid1(VALU_DEP_1)
	v_dual_cndmask_b32 v3, v7, v3, s0 :: v_dual_bitop2_b32 v6, v6, v4 bitop3:0x14
	v_xor_b32_e32 v7, v3, v4
	s_delay_alu instid0(VALU_DEP_1)
	v_sub_nc_u64_e32 v[4:5], v[6:7], v[4:5]
.LBB0_7:                                ;   in Loop: Header=BB0_4 Depth=1
	s_and_not1_saveexec_b32 s0, s30
	s_cbranch_execz .LBB0_9
; %bb.8:                                ;   in Loop: Header=BB0_4 Depth=1
	v_mul_hi_u32 v3, v0, v19
	s_delay_alu instid0(VALU_DEP_1) | instskip(NEXT) | instid1(VALU_DEP_1)
	v_mul_lo_u32 v4, v3, s16
	v_dual_add_nc_u32 v5, 1, v3 :: v_dual_sub_nc_u32 v4, v0, v4
	s_delay_alu instid0(VALU_DEP_1) | instskip(SKIP_1) | instid1(VALU_DEP_2)
	v_subrev_nc_u32_e32 v6, s16, v4
	v_cmp_le_u32_e32 vcc_lo, s16, v4
	v_dual_cndmask_b32 v4, v4, v6 :: v_dual_cndmask_b32 v3, v3, v5
	s_delay_alu instid0(VALU_DEP_1) | instskip(NEXT) | instid1(VALU_DEP_2)
	v_cmp_le_u32_e32 vcc_lo, s16, v4
	v_add_nc_u32_e32 v5, 1, v3
	s_delay_alu instid0(VALU_DEP_1)
	v_dual_cndmask_b32 v4, v3, v5 :: v_dual_mov_b32 v5, v2
.LBB0_9:                                ;   in Loop: Header=BB0_4 Depth=1
	s_or_b32 exec_lo, exec_lo, s0
	s_delay_alu instid0(VALU_DEP_1)
	v_mul_u64_e32 v[4:5], s[18:19], v[4:5]
.LBB0_10:                               ;   in Loop: Header=BB0_4 Depth=1
	v_add_nc_u64_e32 v[6:7], s[6:7], v[0:1]
	v_cmp_ne_u32_e64 s0, 1, v18
	s_and_not1_b32 vcc_lo, exec_lo, s26
	s_mov_b32 s2, -1
                                        ; implicit-def: $vgpr8_vgpr9
	s_wait_loadcnt 0x0
	global_load_u8 v3, v[6:7], off
	s_wait_xcnt 0x0
	v_add_nc_u64_e32 v[6:7], s[18:19], v[4:5]
	s_cbranch_vccnz .LBB0_20
; %bb.11:                               ;   in Loop: Header=BB0_4 Depth=1
	v_mov_b64_e32 v[8:9], v[4:5]
	s_and_b32 vcc_lo, exec_lo, s0
	s_cbranch_vccnz .LBB0_19
; %bb.12:                               ;   in Loop: Header=BB0_4 Depth=1
	v_add_nc_u64_e32 v[10:11], s[8:9], v[4:5]
	v_mov_b64_e32 v[8:9], v[4:5]
	v_mov_b64_e32 v[12:13], v[6:7]
	s_mov_b32 s0, 0
	s_branch .LBB0_14
.LBB0_13:                               ;   in Loop: Header=BB0_14 Depth=2
	global_load_u8 v20, v[16:17], off
	s_wait_loadcnt 0x1
	v_and_b32_e32 v21, 0xff, v3
	s_wait_xcnt 0x0
	v_add_nc_u64_e32 v[16:17], 1, v[14:15]
	s_wait_loadcnt 0x0
	s_delay_alu instid0(VALU_DEP_2) | instskip(SKIP_1) | instid1(VALU_DEP_3)
	v_cmp_lt_u16_e32 vcc_lo, v20, v21
	v_dual_cndmask_b32 v13, v15, v13 :: v_dual_cndmask_b32 v12, v14, v12
	v_dual_cndmask_b32 v9, v9, v17 :: v_dual_cndmask_b32 v8, v8, v16
	s_delay_alu instid0(VALU_DEP_1) | instskip(SKIP_1) | instid1(SALU_CYCLE_1)
	v_cmp_ge_i64_e32 vcc_lo, v[8:9], v[12:13]
	s_or_b32 s0, vcc_lo, s0
	s_and_not1_b32 exec_lo, exec_lo, s0
	s_cbranch_execz .LBB0_18
.LBB0_14:                               ;   Parent Loop BB0_4 Depth=1
                                        ; =>  This Inner Loop Header: Depth=2
	s_delay_alu instid0(VALU_DEP_1) | instskip(SKIP_1) | instid1(VALU_DEP_1)
	v_sub_nc_u64_e32 v[14:15], v[12:13], v[8:9]
	s_and_not1_b32 vcc_lo, exec_lo, s1
	v_lshrrev_b64 v[14:15], 1, v[14:15]
	s_delay_alu instid0(VALU_DEP_1)
	v_add_nc_u64_e32 v[14:15], v[14:15], v[8:9]
	s_cbranch_vccnz .LBB0_16
; %bb.15:                               ;   in Loop: Header=BB0_14 Depth=2
	s_delay_alu instid0(VALU_DEP_1)
	v_lshl_add_u64 v[16:17], v[14:15], 3, s[10:11]
	global_load_b64 v[16:17], v[16:17], off
	s_wait_loadcnt 0x0
	s_wait_xcnt 0x0
	v_add_nc_u64_e32 v[16:17], v[10:11], v[16:17]
	s_cbranch_execnz .LBB0_13
	s_branch .LBB0_17
.LBB0_16:                               ;   in Loop: Header=BB0_14 Depth=2
                                        ; implicit-def: $vgpr16_vgpr17
.LBB0_17:                               ;   in Loop: Header=BB0_14 Depth=2
	s_delay_alu instid0(VALU_DEP_1)
	v_add_nc_u64_e32 v[16:17], s[8:9], v[14:15]
	s_branch .LBB0_13
.LBB0_18:                               ;   in Loop: Header=BB0_4 Depth=1
	s_or_b32 exec_lo, exec_lo, s0
.LBB0_19:                               ;   in Loop: Header=BB0_4 Depth=1
	s_mov_b32 s2, 0
.LBB0_20:                               ;   in Loop: Header=BB0_4 Depth=1
	s_delay_alu instid0(SALU_CYCLE_1)
	s_and_not1_b32 vcc_lo, exec_lo, s2
	s_cbranch_vccnz .LBB0_3
; %bb.21:                               ;   in Loop: Header=BB0_4 Depth=1
	v_mov_b64_e32 v[8:9], v[4:5]
	s_and_not1_b32 vcc_lo, exec_lo, s28
	s_cbranch_vccnz .LBB0_3
; %bb.22:                               ;   in Loop: Header=BB0_4 Depth=1
	v_add_nc_u64_e32 v[10:11], s[8:9], v[4:5]
	v_mov_b64_e32 v[8:9], v[4:5]
	s_mov_b32 s0, 0
	s_branch .LBB0_24
.LBB0_23:                               ;   in Loop: Header=BB0_24 Depth=2
	global_load_u8 v16, v[14:15], off
	s_wait_loadcnt 0x1
	v_and_b32_e32 v17, 0xff, v3
	s_wait_xcnt 0x0
	v_add_nc_u64_e32 v[14:15], 1, v[12:13]
	s_wait_loadcnt 0x0
	s_delay_alu instid0(VALU_DEP_2) | instskip(SKIP_1) | instid1(VALU_DEP_3)
	v_cmp_gt_u16_e32 vcc_lo, v16, v17
	v_dual_cndmask_b32 v7, v7, v13 :: v_dual_cndmask_b32 v6, v6, v12
	v_dual_cndmask_b32 v9, v15, v9 :: v_dual_cndmask_b32 v8, v14, v8
	s_delay_alu instid0(VALU_DEP_1) | instskip(SKIP_1) | instid1(SALU_CYCLE_1)
	v_cmp_ge_i64_e32 vcc_lo, v[8:9], v[6:7]
	s_or_b32 s0, vcc_lo, s0
	s_and_not1_b32 exec_lo, exec_lo, s0
	s_cbranch_execz .LBB0_2
.LBB0_24:                               ;   Parent Loop BB0_4 Depth=1
                                        ; =>  This Inner Loop Header: Depth=2
	s_delay_alu instid0(VALU_DEP_1) | instskip(SKIP_1) | instid1(VALU_DEP_1)
	v_sub_nc_u64_e32 v[12:13], v[6:7], v[8:9]
	s_and_not1_b32 vcc_lo, exec_lo, s1
	v_lshrrev_b64 v[12:13], 1, v[12:13]
	s_delay_alu instid0(VALU_DEP_1)
	v_add_nc_u64_e32 v[12:13], v[12:13], v[8:9]
	s_cbranch_vccnz .LBB0_26
; %bb.25:                               ;   in Loop: Header=BB0_24 Depth=2
	s_delay_alu instid0(VALU_DEP_1)
	v_lshl_add_u64 v[14:15], v[12:13], 3, s[10:11]
	global_load_b64 v[14:15], v[14:15], off
	s_wait_loadcnt 0x0
	s_wait_xcnt 0x0
	v_add_nc_u64_e32 v[14:15], v[10:11], v[14:15]
	s_cbranch_execnz .LBB0_23
	s_branch .LBB0_27
.LBB0_26:                               ;   in Loop: Header=BB0_24 Depth=2
                                        ; implicit-def: $vgpr14_vgpr15
.LBB0_27:                               ;   in Loop: Header=BB0_24 Depth=2
	s_delay_alu instid0(VALU_DEP_1)
	v_add_nc_u64_e32 v[14:15], s[8:9], v[12:13]
	s_branch .LBB0_23
.LBB0_28:
	s_endpgm
	.section	.rodata,"a",@progbits
	.p2align	6, 0x0
	.amdhsa_kernel _ZN2at6native12_GLOBAL__N_124searchsorted_cuda_kernelIhlEEvPT0_PKT_S7_PKllllbb
		.amdhsa_group_segment_fixed_size 0
		.amdhsa_private_segment_fixed_size 0
		.amdhsa_kernarg_size 320
		.amdhsa_user_sgpr_count 2
		.amdhsa_user_sgpr_dispatch_ptr 0
		.amdhsa_user_sgpr_queue_ptr 0
		.amdhsa_user_sgpr_kernarg_segment_ptr 1
		.amdhsa_user_sgpr_dispatch_id 0
		.amdhsa_user_sgpr_kernarg_preload_length 0
		.amdhsa_user_sgpr_kernarg_preload_offset 0
		.amdhsa_user_sgpr_private_segment_size 0
		.amdhsa_wavefront_size32 1
		.amdhsa_uses_dynamic_stack 0
		.amdhsa_enable_private_segment 0
		.amdhsa_system_sgpr_workgroup_id_x 1
		.amdhsa_system_sgpr_workgroup_id_y 0
		.amdhsa_system_sgpr_workgroup_id_z 0
		.amdhsa_system_sgpr_workgroup_info 0
		.amdhsa_system_vgpr_workitem_id 0
		.amdhsa_next_free_vgpr 22
		.amdhsa_next_free_sgpr 42
		.amdhsa_named_barrier_count 0
		.amdhsa_reserve_vcc 1
		.amdhsa_float_round_mode_32 0
		.amdhsa_float_round_mode_16_64 0
		.amdhsa_float_denorm_mode_32 3
		.amdhsa_float_denorm_mode_16_64 3
		.amdhsa_fp16_overflow 0
		.amdhsa_memory_ordered 1
		.amdhsa_forward_progress 1
		.amdhsa_inst_pref_size 12
		.amdhsa_round_robin_scheduling 0
		.amdhsa_exception_fp_ieee_invalid_op 0
		.amdhsa_exception_fp_denorm_src 0
		.amdhsa_exception_fp_ieee_div_zero 0
		.amdhsa_exception_fp_ieee_overflow 0
		.amdhsa_exception_fp_ieee_underflow 0
		.amdhsa_exception_fp_ieee_inexact 0
		.amdhsa_exception_int_div_zero 0
	.end_amdhsa_kernel
	.section	.text._ZN2at6native12_GLOBAL__N_124searchsorted_cuda_kernelIhlEEvPT0_PKT_S7_PKllllbb,"axG",@progbits,_ZN2at6native12_GLOBAL__N_124searchsorted_cuda_kernelIhlEEvPT0_PKT_S7_PKllllbb,comdat
.Lfunc_end0:
	.size	_ZN2at6native12_GLOBAL__N_124searchsorted_cuda_kernelIhlEEvPT0_PKT_S7_PKllllbb, .Lfunc_end0-_ZN2at6native12_GLOBAL__N_124searchsorted_cuda_kernelIhlEEvPT0_PKT_S7_PKllllbb
                                        ; -- End function
	.set _ZN2at6native12_GLOBAL__N_124searchsorted_cuda_kernelIhlEEvPT0_PKT_S7_PKllllbb.num_vgpr, 22
	.set _ZN2at6native12_GLOBAL__N_124searchsorted_cuda_kernelIhlEEvPT0_PKT_S7_PKllllbb.num_agpr, 0
	.set _ZN2at6native12_GLOBAL__N_124searchsorted_cuda_kernelIhlEEvPT0_PKT_S7_PKllllbb.numbered_sgpr, 42
	.set _ZN2at6native12_GLOBAL__N_124searchsorted_cuda_kernelIhlEEvPT0_PKT_S7_PKllllbb.num_named_barrier, 0
	.set _ZN2at6native12_GLOBAL__N_124searchsorted_cuda_kernelIhlEEvPT0_PKT_S7_PKllllbb.private_seg_size, 0
	.set _ZN2at6native12_GLOBAL__N_124searchsorted_cuda_kernelIhlEEvPT0_PKT_S7_PKllllbb.uses_vcc, 1
	.set _ZN2at6native12_GLOBAL__N_124searchsorted_cuda_kernelIhlEEvPT0_PKT_S7_PKllllbb.uses_flat_scratch, 0
	.set _ZN2at6native12_GLOBAL__N_124searchsorted_cuda_kernelIhlEEvPT0_PKT_S7_PKllllbb.has_dyn_sized_stack, 0
	.set _ZN2at6native12_GLOBAL__N_124searchsorted_cuda_kernelIhlEEvPT0_PKT_S7_PKllllbb.has_recursion, 0
	.set _ZN2at6native12_GLOBAL__N_124searchsorted_cuda_kernelIhlEEvPT0_PKT_S7_PKllllbb.has_indirect_call, 0
	.section	.AMDGPU.csdata,"",@progbits
; Kernel info:
; codeLenInByte = 1512
; TotalNumSgprs: 44
; NumVgprs: 22
; ScratchSize: 0
; MemoryBound: 0
; FloatMode: 240
; IeeeMode: 1
; LDSByteSize: 0 bytes/workgroup (compile time only)
; SGPRBlocks: 0
; VGPRBlocks: 1
; NumSGPRsForWavesPerEU: 44
; NumVGPRsForWavesPerEU: 22
; NamedBarCnt: 0
; Occupancy: 16
; WaveLimiterHint : 0
; COMPUTE_PGM_RSRC2:SCRATCH_EN: 0
; COMPUTE_PGM_RSRC2:USER_SGPR: 2
; COMPUTE_PGM_RSRC2:TRAP_HANDLER: 0
; COMPUTE_PGM_RSRC2:TGID_X_EN: 1
; COMPUTE_PGM_RSRC2:TGID_Y_EN: 0
; COMPUTE_PGM_RSRC2:TGID_Z_EN: 0
; COMPUTE_PGM_RSRC2:TIDIG_COMP_CNT: 0
	.section	.text._ZN2at6native12_GLOBAL__N_124searchsorted_cuda_kernelIalEEvPT0_PKT_S7_PKllllbb,"axG",@progbits,_ZN2at6native12_GLOBAL__N_124searchsorted_cuda_kernelIalEEvPT0_PKT_S7_PKllllbb,comdat
	.globl	_ZN2at6native12_GLOBAL__N_124searchsorted_cuda_kernelIalEEvPT0_PKT_S7_PKllllbb ; -- Begin function _ZN2at6native12_GLOBAL__N_124searchsorted_cuda_kernelIalEEvPT0_PKT_S7_PKllllbb
	.p2align	8
	.type	_ZN2at6native12_GLOBAL__N_124searchsorted_cuda_kernelIalEEvPT0_PKT_S7_PKllllbb,@function
_ZN2at6native12_GLOBAL__N_124searchsorted_cuda_kernelIalEEvPT0_PKT_S7_PKllllbb: ; @_ZN2at6native12_GLOBAL__N_124searchsorted_cuda_kernelIalEEvPT0_PKT_S7_PKllllbb
; %bb.0:
	s_clause 0x1
	s_load_b32 s2, s[0:1], 0x4c
	s_load_b128 s[12:15], s[0:1], 0x30
	s_bfe_u32 s3, ttmp6, 0x4000c
	v_mov_b32_e32 v2, 0
	s_add_co_i32 s3, s3, 1
	s_and_b32 s4, ttmp6, 15
	s_mul_i32 s3, ttmp9, s3
	s_getreg_b32 s5, hwreg(HW_REG_IB_STS2, 6, 4)
	v_mov_b32_e32 v1, v2
	s_add_co_i32 s4, s4, s3
	s_wait_kmcnt 0x0
	s_and_b32 s2, s2, 0xffff
	s_cmp_eq_u32 s5, 0
	s_cselect_b32 s3, ttmp9, s4
	s_mov_b32 s4, exec_lo
	v_mad_nc_u64_u32 v[0:1], s2, s3, v[0:1]
	s_mov_b32 s3, 0
	s_delay_alu instid0(VALU_DEP_1)
	v_cmpx_gt_i64_e64 s[12:13], v[0:1]
	s_cbranch_execz .LBB1_28
; %bb.1:
	s_clause 0x2
	s_load_b128 s[16:19], s[0:1], 0x20
	s_load_b32 s14, s[0:1], 0x38
	s_load_b256 s[4:11], s[0:1], 0x0
	s_mov_b32 s21, s3
	s_mov_b32 s29, 0
	s_wait_kmcnt 0x0
	v_cvt_f32_u32_e32 v3, s16
	s_bitcmp1_b32 s14, 0
	v_cmp_gt_i64_e64 s28, s[18:19], 0
	s_cselect_b32 s15, -1, 0
	v_rcp_iflag_f32_e32 v3, v3
	s_xor_b32 s26, s15, -1
	s_bitcmp1_b32 s14, 8
	s_cselect_b32 s14, -1, 0
	v_cndmask_b32_e64 v18, 0, 1, s28
	s_xor_b32 s27, s14, -1
	s_delay_alu instid0(TRANS32_DEP_1)
	v_mul_f32_e32 v3, 0x4f7ffffe, v3
	s_cmp_lg_u64 s[10:11], 0
	s_add_nc_u64 s[14:15], s[0:1], 64
	s_cselect_b32 s1, -1, 0
	s_sub_co_i32 s0, 0, s16
	v_cvt_u32_f32_e32 v3, v3
	s_load_b32 s20, s[14:15], 0x0
	s_wait_xcnt 0x0
	s_mov_b64 s[14:15], 0xffffffff
	s_ashr_i32 s22, s17, 31
	v_mul_lo_u32 v4, s0, v3
	s_delay_alu instid0(VALU_DEP_1) | instskip(SKIP_2) | instid1(VALU_DEP_1)
	v_mul_hi_u32 v4, v3, v4
	s_wait_kmcnt 0x0
	s_mul_i32 s20, s20, s2
	v_add_nc_u32_e32 v19, v3, v4
	s_branch .LBB1_4
.LBB1_2:                                ;   in Loop: Header=BB1_4 Depth=1
	s_or_b32 exec_lo, exec_lo, s0
.LBB1_3:                                ;   in Loop: Header=BB1_4 Depth=1
	v_lshl_add_u64 v[6:7], v[0:1], 3, s[4:5]
	v_add_nc_u64_e32 v[0:1], s[20:21], v[0:1]
	s_delay_alu instid0(VALU_DEP_3) | instskip(NEXT) | instid1(VALU_DEP_2)
	v_sub_nc_u64_e32 v[4:5], v[8:9], v[4:5]
	v_cmp_le_i64_e32 vcc_lo, s[12:13], v[0:1]
	global_store_b64 v[6:7], v[4:5], off
	s_or_b32 s29, vcc_lo, s29
	s_wait_xcnt 0x0
	s_and_not1_b32 exec_lo, exec_lo, s29
	s_cbranch_execz .LBB1_28
.LBB1_4:                                ; =>This Loop Header: Depth=1
                                        ;     Child Loop BB1_14 Depth 2
                                        ;     Child Loop BB1_24 Depth 2
	v_mov_b64_e32 v[4:5], 0
	s_and_not1_b32 vcc_lo, exec_lo, s27
	s_cbranch_vccnz .LBB1_10
; %bb.5:                                ;   in Loop: Header=BB1_4 Depth=1
	s_wait_loadcnt 0x0
	v_or_b32_e32 v3, s17, v1
                                        ; implicit-def: $vgpr4_vgpr5
	s_mov_b32 s0, exec_lo
	s_delay_alu instid0(VALU_DEP_1)
	v_cmpx_ne_u64_e32 0, v[2:3]
	s_xor_b32 s30, exec_lo, s0
	s_cbranch_execz .LBB1_7
; %bb.6:                                ;   in Loop: Header=BB1_4 Depth=1
	s_mov_b32 s23, s22
	v_dual_mov_b32 v9, v2 :: v_dual_ashrrev_i32 v4, 31, v1
	s_add_nc_u64 s[24:25], s[16:17], s[22:23]
	s_delay_alu instid0(SALU_CYCLE_1) | instskip(NEXT) | instid1(VALU_DEP_1)
	s_xor_b64 s[24:25], s[24:25], s[22:23]
	v_mov_b32_e32 v5, v4
	s_cvt_f32_u32 s0, s24
	s_cvt_f32_u32 s2, s25
	s_sub_nc_u64 s[36:37], 0, s[24:25]
	s_delay_alu instid0(VALU_DEP_1) | instskip(NEXT) | instid1(SALU_CYCLE_1)
	v_add_nc_u64_e32 v[6:7], v[0:1], v[4:5]
	s_fmamk_f32 s0, s2, 0x4f800000, s0
	v_mov_b32_e32 v13, v2
	s_delay_alu instid0(SALU_CYCLE_2) | instskip(NEXT) | instid1(VALU_DEP_2)
	v_s_rcp_f32 s0, s0
	v_xor_b32_e32 v8, v6, v4
	s_delay_alu instid0(VALU_DEP_3) | instskip(SKIP_1) | instid1(TRANS32_DEP_1)
	v_dual_mov_b32 v17, v2 :: v_dual_bitop2_b32 v12, v7, v4 bitop3:0x14
	v_xor_b32_e32 v4, s22, v4
	s_mul_f32 s0, s0, 0x5f7ffffc
	s_delay_alu instid0(SALU_CYCLE_3) | instskip(NEXT) | instid1(SALU_CYCLE_3)
	s_mul_f32 s2, s0, 0x2f800000
	s_trunc_f32 s2, s2
	s_delay_alu instid0(SALU_CYCLE_3) | instskip(SKIP_1) | instid1(SALU_CYCLE_2)
	s_fmamk_f32 s0, s2, 0xcf800000, s0
	s_cvt_u32_f32 s35, s2
	s_cvt_u32_f32 s34, s0
	s_delay_alu instid0(SALU_CYCLE_3) | instskip(NEXT) | instid1(SALU_CYCLE_1)
	s_mul_u64 s[38:39], s[36:37], s[34:35]
	s_mul_hi_u32 s41, s34, s39
	s_mul_i32 s40, s34, s39
	s_mul_hi_u32 s2, s34, s38
	s_mul_i32 s23, s35, s38
	s_add_nc_u64 s[40:41], s[2:3], s[40:41]
	s_mul_hi_u32 s0, s35, s38
	s_mul_hi_u32 s31, s35, s39
	s_add_co_u32 s2, s40, s23
	s_add_co_ci_u32 s2, s41, s0
	s_mul_i32 s38, s35, s39
	s_add_co_ci_u32 s39, s31, 0
	s_delay_alu instid0(SALU_CYCLE_1) | instskip(NEXT) | instid1(SALU_CYCLE_1)
	s_add_nc_u64 s[38:39], s[2:3], s[38:39]
	s_add_co_u32 s34, s34, s38
	s_cselect_b32 s0, -1, 0
	s_delay_alu instid0(SALU_CYCLE_1) | instskip(SKIP_1) | instid1(SALU_CYCLE_1)
	s_cmp_lg_u32 s0, 0
	s_add_co_ci_u32 s35, s35, s39
	s_mul_u64 s[36:37], s[36:37], s[34:35]
	s_delay_alu instid0(SALU_CYCLE_1)
	s_mul_hi_u32 s39, s34, s37
	s_mul_i32 s38, s34, s37
	s_mul_hi_u32 s2, s34, s36
	s_mul_i32 s23, s35, s36
	s_add_nc_u64 s[38:39], s[2:3], s[38:39]
	s_mul_hi_u32 s0, s35, s36
	s_mul_hi_u32 s31, s35, s37
	s_add_co_u32 s2, s38, s23
	s_add_co_ci_u32 s2, s39, s0
	s_mul_i32 s36, s35, s37
	s_add_co_ci_u32 s37, s31, 0
	s_delay_alu instid0(SALU_CYCLE_1) | instskip(NEXT) | instid1(SALU_CYCLE_1)
	s_add_nc_u64 s[36:37], s[2:3], s[36:37]
	s_add_co_u32 s0, s34, s36
	s_cselect_b32 s2, -1, 0
	v_mul_hi_u32 v16, v8, s0
	s_cmp_lg_u32 s2, 0
	s_add_co_ci_u32 s2, s35, s37
	s_and_b64 s[34:35], s[0:1], s[14:15]
	v_mul_u64_e32 v[10:11], s[2:3], v[8:9]
	v_mul_u64_e32 v[6:7], s[34:35], v[12:13]
	;; [unrolled: 1-line block ×3, first 2 shown]
	s_delay_alu instid0(VALU_DEP_3) | instskip(NEXT) | instid1(VALU_DEP_1)
	v_add_nc_u64_e32 v[10:11], v[16:17], v[10:11]
	v_add_co_u32 v3, vcc_lo, v10, v6
	s_delay_alu instid0(VALU_DEP_2) | instskip(NEXT) | instid1(VALU_DEP_4)
	v_add_co_ci_u32_e32 v16, vcc_lo, v11, v7, vcc_lo
	v_add_co_ci_u32_e32 v15, vcc_lo, 0, v15, vcc_lo
	s_delay_alu instid0(VALU_DEP_1) | instskip(NEXT) | instid1(VALU_DEP_1)
	v_add_nc_u64_e32 v[6:7], v[16:17], v[14:15]
	v_mul_u64_e32 v[10:11], s[24:25], v[6:7]
	s_delay_alu instid0(VALU_DEP_1) | instskip(NEXT) | instid1(VALU_DEP_2)
	v_sub_nc_u32_e32 v3, v12, v11
	v_sub_co_u32 v5, vcc_lo, v8, v10
	s_delay_alu instid0(VALU_DEP_1) | instskip(NEXT) | instid1(VALU_DEP_3)
	v_sub_co_ci_u32_e64 v12, null, v12, v11, vcc_lo
	v_subrev_co_ci_u32_e64 v3, null, s25, v3, vcc_lo
	s_delay_alu instid0(VALU_DEP_3) | instskip(SKIP_1) | instid1(VALU_DEP_3)
	v_sub_co_u32 v8, s0, v5, s24
	v_add_nc_u64_e32 v[10:11], 1, v[6:7]
	v_subrev_co_ci_u32_e64 v3, null, 0, v3, s0
	s_delay_alu instid0(VALU_DEP_3) | instskip(SKIP_1) | instid1(VALU_DEP_3)
	v_cmp_le_u32_e32 vcc_lo, s24, v8
	v_cndmask_b32_e64 v8, 0, -1, vcc_lo
	v_cmp_le_u32_e32 vcc_lo, s25, v3
	v_cndmask_b32_e64 v9, 0, -1, vcc_lo
	;; [unrolled: 2-line block ×4, first 2 shown]
	v_cmp_eq_u32_e32 vcc_lo, s25, v3
	v_cndmask_b32_e32 v3, v9, v8, vcc_lo
	v_cmp_eq_u32_e32 vcc_lo, s25, v12
	v_add_nc_u64_e32 v[8:9], 2, v[6:7]
	v_cndmask_b32_e32 v5, v13, v5, vcc_lo
	s_delay_alu instid0(VALU_DEP_4) | instskip(NEXT) | instid1(VALU_DEP_2)
	v_cmp_ne_u32_e32 vcc_lo, 0, v3
	v_cmp_ne_u32_e64 s0, 0, v5
	s_delay_alu instid0(VALU_DEP_4) | instskip(NEXT) | instid1(VALU_DEP_1)
	v_dual_cndmask_b32 v3, v11, v9, vcc_lo :: v_dual_cndmask_b32 v5, v10, v8, vcc_lo
	v_dual_cndmask_b32 v6, v6, v5, s0 :: v_dual_mov_b32 v5, v4
	s_delay_alu instid0(VALU_DEP_1) | instskip(NEXT) | instid1(VALU_DEP_1)
	v_dual_cndmask_b32 v3, v7, v3, s0 :: v_dual_bitop2_b32 v6, v6, v4 bitop3:0x14
	v_xor_b32_e32 v7, v3, v4
	s_delay_alu instid0(VALU_DEP_1)
	v_sub_nc_u64_e32 v[4:5], v[6:7], v[4:5]
.LBB1_7:                                ;   in Loop: Header=BB1_4 Depth=1
	s_and_not1_saveexec_b32 s0, s30
	s_cbranch_execz .LBB1_9
; %bb.8:                                ;   in Loop: Header=BB1_4 Depth=1
	v_mul_hi_u32 v3, v0, v19
	s_delay_alu instid0(VALU_DEP_1) | instskip(NEXT) | instid1(VALU_DEP_1)
	v_mul_lo_u32 v4, v3, s16
	v_dual_add_nc_u32 v5, 1, v3 :: v_dual_sub_nc_u32 v4, v0, v4
	s_delay_alu instid0(VALU_DEP_1) | instskip(SKIP_1) | instid1(VALU_DEP_2)
	v_subrev_nc_u32_e32 v6, s16, v4
	v_cmp_le_u32_e32 vcc_lo, s16, v4
	v_dual_cndmask_b32 v4, v4, v6 :: v_dual_cndmask_b32 v3, v3, v5
	s_delay_alu instid0(VALU_DEP_1) | instskip(NEXT) | instid1(VALU_DEP_2)
	v_cmp_le_u32_e32 vcc_lo, s16, v4
	v_add_nc_u32_e32 v5, 1, v3
	s_delay_alu instid0(VALU_DEP_1)
	v_dual_cndmask_b32 v4, v3, v5 :: v_dual_mov_b32 v5, v2
.LBB1_9:                                ;   in Loop: Header=BB1_4 Depth=1
	s_or_b32 exec_lo, exec_lo, s0
	s_delay_alu instid0(VALU_DEP_1)
	v_mul_u64_e32 v[4:5], s[18:19], v[4:5]
.LBB1_10:                               ;   in Loop: Header=BB1_4 Depth=1
	v_add_nc_u64_e32 v[6:7], s[6:7], v[0:1]
	v_cmp_ne_u32_e64 s0, 1, v18
	s_and_not1_b32 vcc_lo, exec_lo, s26
	s_mov_b32 s2, -1
                                        ; implicit-def: $vgpr8_vgpr9
	s_wait_loadcnt 0x0
	global_load_i8 v3, v[6:7], off
	s_wait_xcnt 0x0
	v_add_nc_u64_e32 v[6:7], s[18:19], v[4:5]
	s_cbranch_vccnz .LBB1_20
; %bb.11:                               ;   in Loop: Header=BB1_4 Depth=1
	v_mov_b64_e32 v[8:9], v[4:5]
	s_and_b32 vcc_lo, exec_lo, s0
	s_cbranch_vccnz .LBB1_19
; %bb.12:                               ;   in Loop: Header=BB1_4 Depth=1
	v_add_nc_u64_e32 v[10:11], s[8:9], v[4:5]
	v_mov_b64_e32 v[8:9], v[4:5]
	v_mov_b64_e32 v[12:13], v[6:7]
	s_mov_b32 s0, 0
	s_branch .LBB1_14
.LBB1_13:                               ;   in Loop: Header=BB1_14 Depth=2
	global_load_i8 v20, v[16:17], off
	s_wait_xcnt 0x0
	v_add_nc_u64_e32 v[16:17], 1, v[14:15]
	s_wait_loadcnt 0x0
	v_cmp_lt_i16_e32 vcc_lo, v20, v3
	v_dual_cndmask_b32 v13, v15, v13 :: v_dual_cndmask_b32 v12, v14, v12
	s_delay_alu instid0(VALU_DEP_3) | instskip(NEXT) | instid1(VALU_DEP_1)
	v_dual_cndmask_b32 v9, v9, v17 :: v_dual_cndmask_b32 v8, v8, v16
	v_cmp_ge_i64_e32 vcc_lo, v[8:9], v[12:13]
	s_or_b32 s0, vcc_lo, s0
	s_delay_alu instid0(SALU_CYCLE_1)
	s_and_not1_b32 exec_lo, exec_lo, s0
	s_cbranch_execz .LBB1_18
.LBB1_14:                               ;   Parent Loop BB1_4 Depth=1
                                        ; =>  This Inner Loop Header: Depth=2
	s_delay_alu instid0(VALU_DEP_1) | instskip(SKIP_1) | instid1(VALU_DEP_1)
	v_sub_nc_u64_e32 v[14:15], v[12:13], v[8:9]
	s_and_not1_b32 vcc_lo, exec_lo, s1
	v_lshrrev_b64 v[14:15], 1, v[14:15]
	s_delay_alu instid0(VALU_DEP_1)
	v_add_nc_u64_e32 v[14:15], v[14:15], v[8:9]
	s_cbranch_vccnz .LBB1_16
; %bb.15:                               ;   in Loop: Header=BB1_14 Depth=2
	s_delay_alu instid0(VALU_DEP_1)
	v_lshl_add_u64 v[16:17], v[14:15], 3, s[10:11]
	global_load_b64 v[16:17], v[16:17], off
	s_wait_loadcnt 0x0
	s_wait_xcnt 0x0
	v_add_nc_u64_e32 v[16:17], v[10:11], v[16:17]
	s_cbranch_execnz .LBB1_13
	s_branch .LBB1_17
.LBB1_16:                               ;   in Loop: Header=BB1_14 Depth=2
                                        ; implicit-def: $vgpr16_vgpr17
.LBB1_17:                               ;   in Loop: Header=BB1_14 Depth=2
	s_delay_alu instid0(VALU_DEP_1)
	v_add_nc_u64_e32 v[16:17], s[8:9], v[14:15]
	s_branch .LBB1_13
.LBB1_18:                               ;   in Loop: Header=BB1_4 Depth=1
	s_or_b32 exec_lo, exec_lo, s0
.LBB1_19:                               ;   in Loop: Header=BB1_4 Depth=1
	s_mov_b32 s2, 0
.LBB1_20:                               ;   in Loop: Header=BB1_4 Depth=1
	s_delay_alu instid0(SALU_CYCLE_1)
	s_and_not1_b32 vcc_lo, exec_lo, s2
	s_cbranch_vccnz .LBB1_3
; %bb.21:                               ;   in Loop: Header=BB1_4 Depth=1
	v_mov_b64_e32 v[8:9], v[4:5]
	s_and_not1_b32 vcc_lo, exec_lo, s28
	s_cbranch_vccnz .LBB1_3
; %bb.22:                               ;   in Loop: Header=BB1_4 Depth=1
	v_add_nc_u64_e32 v[10:11], s[8:9], v[4:5]
	v_mov_b64_e32 v[8:9], v[4:5]
	s_mov_b32 s0, 0
	s_branch .LBB1_24
.LBB1_23:                               ;   in Loop: Header=BB1_24 Depth=2
	global_load_i8 v16, v[14:15], off
	s_wait_xcnt 0x0
	v_add_nc_u64_e32 v[14:15], 1, v[12:13]
	s_wait_loadcnt 0x0
	v_cmp_gt_i16_e32 vcc_lo, v16, v3
	v_dual_cndmask_b32 v7, v7, v13 :: v_dual_cndmask_b32 v6, v6, v12
	s_delay_alu instid0(VALU_DEP_3) | instskip(NEXT) | instid1(VALU_DEP_1)
	v_dual_cndmask_b32 v9, v15, v9 :: v_dual_cndmask_b32 v8, v14, v8
	v_cmp_ge_i64_e32 vcc_lo, v[8:9], v[6:7]
	s_or_b32 s0, vcc_lo, s0
	s_delay_alu instid0(SALU_CYCLE_1)
	s_and_not1_b32 exec_lo, exec_lo, s0
	s_cbranch_execz .LBB1_2
.LBB1_24:                               ;   Parent Loop BB1_4 Depth=1
                                        ; =>  This Inner Loop Header: Depth=2
	s_delay_alu instid0(VALU_DEP_1) | instskip(SKIP_1) | instid1(VALU_DEP_1)
	v_sub_nc_u64_e32 v[12:13], v[6:7], v[8:9]
	s_and_not1_b32 vcc_lo, exec_lo, s1
	v_lshrrev_b64 v[12:13], 1, v[12:13]
	s_delay_alu instid0(VALU_DEP_1)
	v_add_nc_u64_e32 v[12:13], v[12:13], v[8:9]
	s_cbranch_vccnz .LBB1_26
; %bb.25:                               ;   in Loop: Header=BB1_24 Depth=2
	s_delay_alu instid0(VALU_DEP_1)
	v_lshl_add_u64 v[14:15], v[12:13], 3, s[10:11]
	global_load_b64 v[14:15], v[14:15], off
	s_wait_loadcnt 0x0
	s_wait_xcnt 0x0
	v_add_nc_u64_e32 v[14:15], v[10:11], v[14:15]
	s_cbranch_execnz .LBB1_23
	s_branch .LBB1_27
.LBB1_26:                               ;   in Loop: Header=BB1_24 Depth=2
                                        ; implicit-def: $vgpr14_vgpr15
.LBB1_27:                               ;   in Loop: Header=BB1_24 Depth=2
	s_delay_alu instid0(VALU_DEP_1)
	v_add_nc_u64_e32 v[14:15], s[8:9], v[12:13]
	s_branch .LBB1_23
.LBB1_28:
	s_endpgm
	.section	.rodata,"a",@progbits
	.p2align	6, 0x0
	.amdhsa_kernel _ZN2at6native12_GLOBAL__N_124searchsorted_cuda_kernelIalEEvPT0_PKT_S7_PKllllbb
		.amdhsa_group_segment_fixed_size 0
		.amdhsa_private_segment_fixed_size 0
		.amdhsa_kernarg_size 320
		.amdhsa_user_sgpr_count 2
		.amdhsa_user_sgpr_dispatch_ptr 0
		.amdhsa_user_sgpr_queue_ptr 0
		.amdhsa_user_sgpr_kernarg_segment_ptr 1
		.amdhsa_user_sgpr_dispatch_id 0
		.amdhsa_user_sgpr_kernarg_preload_length 0
		.amdhsa_user_sgpr_kernarg_preload_offset 0
		.amdhsa_user_sgpr_private_segment_size 0
		.amdhsa_wavefront_size32 1
		.amdhsa_uses_dynamic_stack 0
		.amdhsa_enable_private_segment 0
		.amdhsa_system_sgpr_workgroup_id_x 1
		.amdhsa_system_sgpr_workgroup_id_y 0
		.amdhsa_system_sgpr_workgroup_id_z 0
		.amdhsa_system_sgpr_workgroup_info 0
		.amdhsa_system_vgpr_workitem_id 0
		.amdhsa_next_free_vgpr 21
		.amdhsa_next_free_sgpr 42
		.amdhsa_named_barrier_count 0
		.amdhsa_reserve_vcc 1
		.amdhsa_float_round_mode_32 0
		.amdhsa_float_round_mode_16_64 0
		.amdhsa_float_denorm_mode_32 3
		.amdhsa_float_denorm_mode_16_64 3
		.amdhsa_fp16_overflow 0
		.amdhsa_memory_ordered 1
		.amdhsa_forward_progress 1
		.amdhsa_inst_pref_size 12
		.amdhsa_round_robin_scheduling 0
		.amdhsa_exception_fp_ieee_invalid_op 0
		.amdhsa_exception_fp_denorm_src 0
		.amdhsa_exception_fp_ieee_div_zero 0
		.amdhsa_exception_fp_ieee_overflow 0
		.amdhsa_exception_fp_ieee_underflow 0
		.amdhsa_exception_fp_ieee_inexact 0
		.amdhsa_exception_int_div_zero 0
	.end_amdhsa_kernel
	.section	.text._ZN2at6native12_GLOBAL__N_124searchsorted_cuda_kernelIalEEvPT0_PKT_S7_PKllllbb,"axG",@progbits,_ZN2at6native12_GLOBAL__N_124searchsorted_cuda_kernelIalEEvPT0_PKT_S7_PKllllbb,comdat
.Lfunc_end1:
	.size	_ZN2at6native12_GLOBAL__N_124searchsorted_cuda_kernelIalEEvPT0_PKT_S7_PKllllbb, .Lfunc_end1-_ZN2at6native12_GLOBAL__N_124searchsorted_cuda_kernelIalEEvPT0_PKT_S7_PKllllbb
                                        ; -- End function
	.set _ZN2at6native12_GLOBAL__N_124searchsorted_cuda_kernelIalEEvPT0_PKT_S7_PKllllbb.num_vgpr, 21
	.set _ZN2at6native12_GLOBAL__N_124searchsorted_cuda_kernelIalEEvPT0_PKT_S7_PKllllbb.num_agpr, 0
	.set _ZN2at6native12_GLOBAL__N_124searchsorted_cuda_kernelIalEEvPT0_PKT_S7_PKllllbb.numbered_sgpr, 42
	.set _ZN2at6native12_GLOBAL__N_124searchsorted_cuda_kernelIalEEvPT0_PKT_S7_PKllllbb.num_named_barrier, 0
	.set _ZN2at6native12_GLOBAL__N_124searchsorted_cuda_kernelIalEEvPT0_PKT_S7_PKllllbb.private_seg_size, 0
	.set _ZN2at6native12_GLOBAL__N_124searchsorted_cuda_kernelIalEEvPT0_PKT_S7_PKllllbb.uses_vcc, 1
	.set _ZN2at6native12_GLOBAL__N_124searchsorted_cuda_kernelIalEEvPT0_PKT_S7_PKllllbb.uses_flat_scratch, 0
	.set _ZN2at6native12_GLOBAL__N_124searchsorted_cuda_kernelIalEEvPT0_PKT_S7_PKllllbb.has_dyn_sized_stack, 0
	.set _ZN2at6native12_GLOBAL__N_124searchsorted_cuda_kernelIalEEvPT0_PKT_S7_PKllllbb.has_recursion, 0
	.set _ZN2at6native12_GLOBAL__N_124searchsorted_cuda_kernelIalEEvPT0_PKT_S7_PKllllbb.has_indirect_call, 0
	.section	.AMDGPU.csdata,"",@progbits
; Kernel info:
; codeLenInByte = 1488
; TotalNumSgprs: 44
; NumVgprs: 21
; ScratchSize: 0
; MemoryBound: 0
; FloatMode: 240
; IeeeMode: 1
; LDSByteSize: 0 bytes/workgroup (compile time only)
; SGPRBlocks: 0
; VGPRBlocks: 1
; NumSGPRsForWavesPerEU: 44
; NumVGPRsForWavesPerEU: 21
; NamedBarCnt: 0
; Occupancy: 16
; WaveLimiterHint : 0
; COMPUTE_PGM_RSRC2:SCRATCH_EN: 0
; COMPUTE_PGM_RSRC2:USER_SGPR: 2
; COMPUTE_PGM_RSRC2:TRAP_HANDLER: 0
; COMPUTE_PGM_RSRC2:TGID_X_EN: 1
; COMPUTE_PGM_RSRC2:TGID_Y_EN: 0
; COMPUTE_PGM_RSRC2:TGID_Z_EN: 0
; COMPUTE_PGM_RSRC2:TIDIG_COMP_CNT: 0
	.section	.text._ZN2at6native12_GLOBAL__N_124searchsorted_cuda_kernelIilEEvPT0_PKT_S7_PKllllbb,"axG",@progbits,_ZN2at6native12_GLOBAL__N_124searchsorted_cuda_kernelIilEEvPT0_PKT_S7_PKllllbb,comdat
	.globl	_ZN2at6native12_GLOBAL__N_124searchsorted_cuda_kernelIilEEvPT0_PKT_S7_PKllllbb ; -- Begin function _ZN2at6native12_GLOBAL__N_124searchsorted_cuda_kernelIilEEvPT0_PKT_S7_PKllllbb
	.p2align	8
	.type	_ZN2at6native12_GLOBAL__N_124searchsorted_cuda_kernelIilEEvPT0_PKT_S7_PKllllbb,@function
_ZN2at6native12_GLOBAL__N_124searchsorted_cuda_kernelIilEEvPT0_PKT_S7_PKllllbb: ; @_ZN2at6native12_GLOBAL__N_124searchsorted_cuda_kernelIilEEvPT0_PKT_S7_PKllllbb
; %bb.0:
	s_clause 0x1
	s_load_b32 s2, s[0:1], 0x4c
	s_load_b128 s[12:15], s[0:1], 0x30
	s_bfe_u32 s3, ttmp6, 0x4000c
	v_mov_b32_e32 v2, 0
	s_add_co_i32 s3, s3, 1
	s_and_b32 s4, ttmp6, 15
	s_mul_i32 s3, ttmp9, s3
	s_getreg_b32 s5, hwreg(HW_REG_IB_STS2, 6, 4)
	v_mov_b32_e32 v1, v2
	s_add_co_i32 s4, s4, s3
	s_wait_kmcnt 0x0
	s_and_b32 s2, s2, 0xffff
	s_cmp_eq_u32 s5, 0
	s_cselect_b32 s3, ttmp9, s4
	s_mov_b32 s4, exec_lo
	v_mad_nc_u64_u32 v[0:1], s2, s3, v[0:1]
	s_mov_b32 s3, 0
	s_delay_alu instid0(VALU_DEP_1)
	v_cmpx_gt_i64_e64 s[12:13], v[0:1]
	s_cbranch_execz .LBB2_28
; %bb.1:
	s_clause 0x2
	s_load_b128 s[16:19], s[0:1], 0x20
	s_load_b32 s14, s[0:1], 0x38
	s_load_b256 s[4:11], s[0:1], 0x0
	s_mov_b32 s21, s3
	s_mov_b32 s29, 0
	s_wait_kmcnt 0x0
	v_cvt_f32_u32_e32 v3, s16
	s_bitcmp1_b32 s14, 0
	v_cmp_gt_i64_e64 s28, s[18:19], 0
	s_cselect_b32 s15, -1, 0
	v_rcp_iflag_f32_e32 v3, v3
	s_xor_b32 s26, s15, -1
	s_bitcmp1_b32 s14, 8
	s_cselect_b32 s14, -1, 0
	v_cndmask_b32_e64 v18, 0, 1, s28
	s_xor_b32 s27, s14, -1
	s_delay_alu instid0(TRANS32_DEP_1)
	v_mul_f32_e32 v3, 0x4f7ffffe, v3
	s_cmp_lg_u64 s[10:11], 0
	s_add_nc_u64 s[14:15], s[0:1], 64
	s_cselect_b32 s1, -1, 0
	s_sub_co_i32 s0, 0, s16
	v_cvt_u32_f32_e32 v3, v3
	s_load_b32 s20, s[14:15], 0x0
	s_wait_xcnt 0x0
	s_mov_b64 s[14:15], 0xffffffff
	s_ashr_i32 s22, s17, 31
	v_mul_lo_u32 v4, s0, v3
	s_delay_alu instid0(VALU_DEP_1) | instskip(SKIP_2) | instid1(VALU_DEP_1)
	v_mul_hi_u32 v4, v3, v4
	s_wait_kmcnt 0x0
	s_mul_i32 s20, s20, s2
	v_add_nc_u32_e32 v19, v3, v4
	s_branch .LBB2_4
.LBB2_2:                                ;   in Loop: Header=BB2_4 Depth=1
	s_or_b32 exec_lo, exec_lo, s0
.LBB2_3:                                ;   in Loop: Header=BB2_4 Depth=1
	v_lshl_add_u64 v[6:7], v[0:1], 3, s[4:5]
	v_add_nc_u64_e32 v[0:1], s[20:21], v[0:1]
	s_delay_alu instid0(VALU_DEP_3) | instskip(NEXT) | instid1(VALU_DEP_2)
	v_sub_nc_u64_e32 v[4:5], v[8:9], v[4:5]
	v_cmp_le_i64_e32 vcc_lo, s[12:13], v[0:1]
	global_store_b64 v[6:7], v[4:5], off
	s_or_b32 s29, vcc_lo, s29
	s_wait_xcnt 0x0
	s_and_not1_b32 exec_lo, exec_lo, s29
	s_cbranch_execz .LBB2_28
.LBB2_4:                                ; =>This Loop Header: Depth=1
                                        ;     Child Loop BB2_14 Depth 2
                                        ;     Child Loop BB2_24 Depth 2
	v_mov_b64_e32 v[4:5], 0
	s_and_not1_b32 vcc_lo, exec_lo, s27
	s_cbranch_vccnz .LBB2_10
; %bb.5:                                ;   in Loop: Header=BB2_4 Depth=1
	s_wait_loadcnt 0x0
	v_or_b32_e32 v3, s17, v1
                                        ; implicit-def: $vgpr4_vgpr5
	s_mov_b32 s0, exec_lo
	s_delay_alu instid0(VALU_DEP_1)
	v_cmpx_ne_u64_e32 0, v[2:3]
	s_xor_b32 s30, exec_lo, s0
	s_cbranch_execz .LBB2_7
; %bb.6:                                ;   in Loop: Header=BB2_4 Depth=1
	s_mov_b32 s23, s22
	v_dual_mov_b32 v9, v2 :: v_dual_ashrrev_i32 v4, 31, v1
	s_add_nc_u64 s[24:25], s[16:17], s[22:23]
	s_delay_alu instid0(SALU_CYCLE_1) | instskip(NEXT) | instid1(VALU_DEP_1)
	s_xor_b64 s[24:25], s[24:25], s[22:23]
	v_mov_b32_e32 v5, v4
	s_cvt_f32_u32 s0, s24
	s_cvt_f32_u32 s2, s25
	s_sub_nc_u64 s[36:37], 0, s[24:25]
	s_delay_alu instid0(VALU_DEP_1) | instskip(NEXT) | instid1(SALU_CYCLE_1)
	v_add_nc_u64_e32 v[6:7], v[0:1], v[4:5]
	s_fmamk_f32 s0, s2, 0x4f800000, s0
	v_mov_b32_e32 v13, v2
	s_delay_alu instid0(SALU_CYCLE_2) | instskip(NEXT) | instid1(VALU_DEP_2)
	v_s_rcp_f32 s0, s0
	v_xor_b32_e32 v8, v6, v4
	s_delay_alu instid0(VALU_DEP_3) | instskip(SKIP_1) | instid1(TRANS32_DEP_1)
	v_dual_mov_b32 v17, v2 :: v_dual_bitop2_b32 v12, v7, v4 bitop3:0x14
	v_xor_b32_e32 v4, s22, v4
	s_mul_f32 s0, s0, 0x5f7ffffc
	s_delay_alu instid0(SALU_CYCLE_3) | instskip(NEXT) | instid1(SALU_CYCLE_3)
	s_mul_f32 s2, s0, 0x2f800000
	s_trunc_f32 s2, s2
	s_delay_alu instid0(SALU_CYCLE_3) | instskip(SKIP_1) | instid1(SALU_CYCLE_2)
	s_fmamk_f32 s0, s2, 0xcf800000, s0
	s_cvt_u32_f32 s35, s2
	s_cvt_u32_f32 s34, s0
	s_delay_alu instid0(SALU_CYCLE_3) | instskip(NEXT) | instid1(SALU_CYCLE_1)
	s_mul_u64 s[38:39], s[36:37], s[34:35]
	s_mul_hi_u32 s41, s34, s39
	s_mul_i32 s40, s34, s39
	s_mul_hi_u32 s2, s34, s38
	s_mul_i32 s23, s35, s38
	s_add_nc_u64 s[40:41], s[2:3], s[40:41]
	s_mul_hi_u32 s0, s35, s38
	s_mul_hi_u32 s31, s35, s39
	s_add_co_u32 s2, s40, s23
	s_add_co_ci_u32 s2, s41, s0
	s_mul_i32 s38, s35, s39
	s_add_co_ci_u32 s39, s31, 0
	s_delay_alu instid0(SALU_CYCLE_1) | instskip(NEXT) | instid1(SALU_CYCLE_1)
	s_add_nc_u64 s[38:39], s[2:3], s[38:39]
	s_add_co_u32 s34, s34, s38
	s_cselect_b32 s0, -1, 0
	s_delay_alu instid0(SALU_CYCLE_1) | instskip(SKIP_1) | instid1(SALU_CYCLE_1)
	s_cmp_lg_u32 s0, 0
	s_add_co_ci_u32 s35, s35, s39
	s_mul_u64 s[36:37], s[36:37], s[34:35]
	s_delay_alu instid0(SALU_CYCLE_1)
	s_mul_hi_u32 s39, s34, s37
	s_mul_i32 s38, s34, s37
	s_mul_hi_u32 s2, s34, s36
	s_mul_i32 s23, s35, s36
	s_add_nc_u64 s[38:39], s[2:3], s[38:39]
	s_mul_hi_u32 s0, s35, s36
	s_mul_hi_u32 s31, s35, s37
	s_add_co_u32 s2, s38, s23
	s_add_co_ci_u32 s2, s39, s0
	s_mul_i32 s36, s35, s37
	s_add_co_ci_u32 s37, s31, 0
	s_delay_alu instid0(SALU_CYCLE_1) | instskip(NEXT) | instid1(SALU_CYCLE_1)
	s_add_nc_u64 s[36:37], s[2:3], s[36:37]
	s_add_co_u32 s0, s34, s36
	s_cselect_b32 s2, -1, 0
	v_mul_hi_u32 v16, v8, s0
	s_cmp_lg_u32 s2, 0
	s_add_co_ci_u32 s2, s35, s37
	s_and_b64 s[34:35], s[0:1], s[14:15]
	v_mul_u64_e32 v[10:11], s[2:3], v[8:9]
	v_mul_u64_e32 v[6:7], s[34:35], v[12:13]
	;; [unrolled: 1-line block ×3, first 2 shown]
	s_delay_alu instid0(VALU_DEP_3) | instskip(NEXT) | instid1(VALU_DEP_1)
	v_add_nc_u64_e32 v[10:11], v[16:17], v[10:11]
	v_add_co_u32 v3, vcc_lo, v10, v6
	s_delay_alu instid0(VALU_DEP_2) | instskip(NEXT) | instid1(VALU_DEP_4)
	v_add_co_ci_u32_e32 v16, vcc_lo, v11, v7, vcc_lo
	v_add_co_ci_u32_e32 v15, vcc_lo, 0, v15, vcc_lo
	s_delay_alu instid0(VALU_DEP_1) | instskip(NEXT) | instid1(VALU_DEP_1)
	v_add_nc_u64_e32 v[6:7], v[16:17], v[14:15]
	v_mul_u64_e32 v[10:11], s[24:25], v[6:7]
	s_delay_alu instid0(VALU_DEP_1) | instskip(NEXT) | instid1(VALU_DEP_2)
	v_sub_nc_u32_e32 v3, v12, v11
	v_sub_co_u32 v5, vcc_lo, v8, v10
	s_delay_alu instid0(VALU_DEP_1) | instskip(NEXT) | instid1(VALU_DEP_3)
	v_sub_co_ci_u32_e64 v12, null, v12, v11, vcc_lo
	v_subrev_co_ci_u32_e64 v3, null, s25, v3, vcc_lo
	s_delay_alu instid0(VALU_DEP_3) | instskip(SKIP_1) | instid1(VALU_DEP_3)
	v_sub_co_u32 v8, s0, v5, s24
	v_add_nc_u64_e32 v[10:11], 1, v[6:7]
	v_subrev_co_ci_u32_e64 v3, null, 0, v3, s0
	s_delay_alu instid0(VALU_DEP_3) | instskip(SKIP_1) | instid1(VALU_DEP_3)
	v_cmp_le_u32_e32 vcc_lo, s24, v8
	v_cndmask_b32_e64 v8, 0, -1, vcc_lo
	v_cmp_le_u32_e32 vcc_lo, s25, v3
	v_cndmask_b32_e64 v9, 0, -1, vcc_lo
	;; [unrolled: 2-line block ×4, first 2 shown]
	v_cmp_eq_u32_e32 vcc_lo, s25, v3
	v_cndmask_b32_e32 v3, v9, v8, vcc_lo
	v_cmp_eq_u32_e32 vcc_lo, s25, v12
	v_add_nc_u64_e32 v[8:9], 2, v[6:7]
	v_cndmask_b32_e32 v5, v13, v5, vcc_lo
	s_delay_alu instid0(VALU_DEP_4) | instskip(NEXT) | instid1(VALU_DEP_2)
	v_cmp_ne_u32_e32 vcc_lo, 0, v3
	v_cmp_ne_u32_e64 s0, 0, v5
	s_delay_alu instid0(VALU_DEP_4) | instskip(NEXT) | instid1(VALU_DEP_1)
	v_dual_cndmask_b32 v3, v11, v9, vcc_lo :: v_dual_cndmask_b32 v5, v10, v8, vcc_lo
	v_dual_cndmask_b32 v6, v6, v5, s0 :: v_dual_mov_b32 v5, v4
	s_delay_alu instid0(VALU_DEP_1) | instskip(NEXT) | instid1(VALU_DEP_1)
	v_dual_cndmask_b32 v3, v7, v3, s0 :: v_dual_bitop2_b32 v6, v6, v4 bitop3:0x14
	v_xor_b32_e32 v7, v3, v4
	s_delay_alu instid0(VALU_DEP_1)
	v_sub_nc_u64_e32 v[4:5], v[6:7], v[4:5]
.LBB2_7:                                ;   in Loop: Header=BB2_4 Depth=1
	s_and_not1_saveexec_b32 s0, s30
	s_cbranch_execz .LBB2_9
; %bb.8:                                ;   in Loop: Header=BB2_4 Depth=1
	v_mul_hi_u32 v3, v0, v19
	s_delay_alu instid0(VALU_DEP_1) | instskip(NEXT) | instid1(VALU_DEP_1)
	v_mul_lo_u32 v4, v3, s16
	v_dual_add_nc_u32 v5, 1, v3 :: v_dual_sub_nc_u32 v4, v0, v4
	s_delay_alu instid0(VALU_DEP_1) | instskip(SKIP_1) | instid1(VALU_DEP_2)
	v_subrev_nc_u32_e32 v6, s16, v4
	v_cmp_le_u32_e32 vcc_lo, s16, v4
	v_dual_cndmask_b32 v4, v4, v6 :: v_dual_cndmask_b32 v3, v3, v5
	s_delay_alu instid0(VALU_DEP_1) | instskip(NEXT) | instid1(VALU_DEP_2)
	v_cmp_le_u32_e32 vcc_lo, s16, v4
	v_add_nc_u32_e32 v5, 1, v3
	s_delay_alu instid0(VALU_DEP_1)
	v_dual_cndmask_b32 v4, v3, v5 :: v_dual_mov_b32 v5, v2
.LBB2_9:                                ;   in Loop: Header=BB2_4 Depth=1
	s_or_b32 exec_lo, exec_lo, s0
	s_delay_alu instid0(VALU_DEP_1)
	v_mul_u64_e32 v[4:5], s[18:19], v[4:5]
.LBB2_10:                               ;   in Loop: Header=BB2_4 Depth=1
	v_lshl_add_u64 v[6:7], v[0:1], 2, s[6:7]
	v_cmp_ne_u32_e64 s0, 1, v18
	s_and_not1_b32 vcc_lo, exec_lo, s26
	s_mov_b32 s2, -1
                                        ; implicit-def: $vgpr8_vgpr9
	s_wait_loadcnt 0x0
	global_load_b32 v3, v[6:7], off
	s_wait_xcnt 0x0
	v_add_nc_u64_e32 v[6:7], s[18:19], v[4:5]
	s_cbranch_vccnz .LBB2_20
; %bb.11:                               ;   in Loop: Header=BB2_4 Depth=1
	v_mov_b64_e32 v[8:9], v[4:5]
	s_and_b32 vcc_lo, exec_lo, s0
	s_cbranch_vccnz .LBB2_19
; %bb.12:                               ;   in Loop: Header=BB2_4 Depth=1
	v_mov_b64_e32 v[8:9], v[4:5]
	s_delay_alu instid0(VALU_DEP_3)
	v_mov_b64_e32 v[12:13], v[6:7]
	v_lshl_add_u64 v[10:11], v[4:5], 2, s[8:9]
	s_mov_b32 s0, 0
	s_branch .LBB2_14
.LBB2_13:                               ;   in Loop: Header=BB2_14 Depth=2
	global_load_b32 v20, v[16:17], off
	s_wait_xcnt 0x0
	v_add_nc_u64_e32 v[16:17], 1, v[14:15]
	s_wait_loadcnt 0x0
	v_cmp_lt_i32_e32 vcc_lo, v20, v3
	v_dual_cndmask_b32 v13, v15, v13 :: v_dual_cndmask_b32 v12, v14, v12
	s_delay_alu instid0(VALU_DEP_3) | instskip(NEXT) | instid1(VALU_DEP_1)
	v_dual_cndmask_b32 v9, v9, v17 :: v_dual_cndmask_b32 v8, v8, v16
	v_cmp_ge_i64_e32 vcc_lo, v[8:9], v[12:13]
	s_or_b32 s0, vcc_lo, s0
	s_delay_alu instid0(SALU_CYCLE_1)
	s_and_not1_b32 exec_lo, exec_lo, s0
	s_cbranch_execz .LBB2_18
.LBB2_14:                               ;   Parent Loop BB2_4 Depth=1
                                        ; =>  This Inner Loop Header: Depth=2
	s_delay_alu instid0(VALU_DEP_2) | instskip(SKIP_1) | instid1(VALU_DEP_1)
	v_sub_nc_u64_e32 v[14:15], v[12:13], v[8:9]
	s_and_not1_b32 vcc_lo, exec_lo, s1
	v_lshrrev_b64 v[14:15], 1, v[14:15]
	s_delay_alu instid0(VALU_DEP_1)
	v_add_nc_u64_e32 v[14:15], v[14:15], v[8:9]
	s_cbranch_vccnz .LBB2_16
; %bb.15:                               ;   in Loop: Header=BB2_14 Depth=2
	s_delay_alu instid0(VALU_DEP_1)
	v_lshl_add_u64 v[16:17], v[14:15], 3, s[10:11]
	global_load_b64 v[16:17], v[16:17], off
	s_wait_loadcnt 0x0
	s_wait_xcnt 0x0
	v_lshl_add_u64 v[16:17], v[16:17], 2, v[10:11]
	s_cbranch_execnz .LBB2_13
	s_branch .LBB2_17
.LBB2_16:                               ;   in Loop: Header=BB2_14 Depth=2
                                        ; implicit-def: $vgpr16_vgpr17
.LBB2_17:                               ;   in Loop: Header=BB2_14 Depth=2
	s_delay_alu instid0(VALU_DEP_1)
	v_lshl_add_u64 v[16:17], v[14:15], 2, s[8:9]
	s_branch .LBB2_13
.LBB2_18:                               ;   in Loop: Header=BB2_4 Depth=1
	s_or_b32 exec_lo, exec_lo, s0
.LBB2_19:                               ;   in Loop: Header=BB2_4 Depth=1
	s_mov_b32 s2, 0
.LBB2_20:                               ;   in Loop: Header=BB2_4 Depth=1
	s_delay_alu instid0(SALU_CYCLE_1)
	s_and_not1_b32 vcc_lo, exec_lo, s2
	s_cbranch_vccnz .LBB2_3
; %bb.21:                               ;   in Loop: Header=BB2_4 Depth=1
	v_mov_b64_e32 v[8:9], v[4:5]
	s_and_not1_b32 vcc_lo, exec_lo, s28
	s_cbranch_vccnz .LBB2_3
; %bb.22:                               ;   in Loop: Header=BB2_4 Depth=1
	v_mov_b64_e32 v[8:9], v[4:5]
	v_lshl_add_u64 v[10:11], v[4:5], 2, s[8:9]
	s_mov_b32 s0, 0
	s_branch .LBB2_24
.LBB2_23:                               ;   in Loop: Header=BB2_24 Depth=2
	global_load_b32 v16, v[14:15], off
	s_wait_xcnt 0x0
	v_add_nc_u64_e32 v[14:15], 1, v[12:13]
	s_wait_loadcnt 0x0
	v_cmp_gt_i32_e32 vcc_lo, v16, v3
	v_dual_cndmask_b32 v7, v7, v13 :: v_dual_cndmask_b32 v6, v6, v12
	s_delay_alu instid0(VALU_DEP_3) | instskip(NEXT) | instid1(VALU_DEP_1)
	v_dual_cndmask_b32 v9, v15, v9 :: v_dual_cndmask_b32 v8, v14, v8
	v_cmp_ge_i64_e32 vcc_lo, v[8:9], v[6:7]
	s_or_b32 s0, vcc_lo, s0
	s_delay_alu instid0(SALU_CYCLE_1)
	s_and_not1_b32 exec_lo, exec_lo, s0
	s_cbranch_execz .LBB2_2
.LBB2_24:                               ;   Parent Loop BB2_4 Depth=1
                                        ; =>  This Inner Loop Header: Depth=2
	s_delay_alu instid0(VALU_DEP_2) | instskip(SKIP_1) | instid1(VALU_DEP_1)
	v_sub_nc_u64_e32 v[12:13], v[6:7], v[8:9]
	s_and_not1_b32 vcc_lo, exec_lo, s1
	v_lshrrev_b64 v[12:13], 1, v[12:13]
	s_delay_alu instid0(VALU_DEP_1)
	v_add_nc_u64_e32 v[12:13], v[12:13], v[8:9]
	s_cbranch_vccnz .LBB2_26
; %bb.25:                               ;   in Loop: Header=BB2_24 Depth=2
	s_delay_alu instid0(VALU_DEP_1)
	v_lshl_add_u64 v[14:15], v[12:13], 3, s[10:11]
	global_load_b64 v[14:15], v[14:15], off
	s_wait_loadcnt 0x0
	s_wait_xcnt 0x0
	v_lshl_add_u64 v[14:15], v[14:15], 2, v[10:11]
	s_cbranch_execnz .LBB2_23
	s_branch .LBB2_27
.LBB2_26:                               ;   in Loop: Header=BB2_24 Depth=2
                                        ; implicit-def: $vgpr14_vgpr15
.LBB2_27:                               ;   in Loop: Header=BB2_24 Depth=2
	s_delay_alu instid0(VALU_DEP_1)
	v_lshl_add_u64 v[14:15], v[12:13], 2, s[8:9]
	s_branch .LBB2_23
.LBB2_28:
	s_endpgm
	.section	.rodata,"a",@progbits
	.p2align	6, 0x0
	.amdhsa_kernel _ZN2at6native12_GLOBAL__N_124searchsorted_cuda_kernelIilEEvPT0_PKT_S7_PKllllbb
		.amdhsa_group_segment_fixed_size 0
		.amdhsa_private_segment_fixed_size 0
		.amdhsa_kernarg_size 320
		.amdhsa_user_sgpr_count 2
		.amdhsa_user_sgpr_dispatch_ptr 0
		.amdhsa_user_sgpr_queue_ptr 0
		.amdhsa_user_sgpr_kernarg_segment_ptr 1
		.amdhsa_user_sgpr_dispatch_id 0
		.amdhsa_user_sgpr_kernarg_preload_length 0
		.amdhsa_user_sgpr_kernarg_preload_offset 0
		.amdhsa_user_sgpr_private_segment_size 0
		.amdhsa_wavefront_size32 1
		.amdhsa_uses_dynamic_stack 0
		.amdhsa_enable_private_segment 0
		.amdhsa_system_sgpr_workgroup_id_x 1
		.amdhsa_system_sgpr_workgroup_id_y 0
		.amdhsa_system_sgpr_workgroup_id_z 0
		.amdhsa_system_sgpr_workgroup_info 0
		.amdhsa_system_vgpr_workitem_id 0
		.amdhsa_next_free_vgpr 21
		.amdhsa_next_free_sgpr 42
		.amdhsa_named_barrier_count 0
		.amdhsa_reserve_vcc 1
		.amdhsa_float_round_mode_32 0
		.amdhsa_float_round_mode_16_64 0
		.amdhsa_float_denorm_mode_32 3
		.amdhsa_float_denorm_mode_16_64 3
		.amdhsa_fp16_overflow 0
		.amdhsa_memory_ordered 1
		.amdhsa_forward_progress 1
		.amdhsa_inst_pref_size 12
		.amdhsa_round_robin_scheduling 0
		.amdhsa_exception_fp_ieee_invalid_op 0
		.amdhsa_exception_fp_denorm_src 0
		.amdhsa_exception_fp_ieee_div_zero 0
		.amdhsa_exception_fp_ieee_overflow 0
		.amdhsa_exception_fp_ieee_underflow 0
		.amdhsa_exception_fp_ieee_inexact 0
		.amdhsa_exception_int_div_zero 0
	.end_amdhsa_kernel
	.section	.text._ZN2at6native12_GLOBAL__N_124searchsorted_cuda_kernelIilEEvPT0_PKT_S7_PKllllbb,"axG",@progbits,_ZN2at6native12_GLOBAL__N_124searchsorted_cuda_kernelIilEEvPT0_PKT_S7_PKllllbb,comdat
.Lfunc_end2:
	.size	_ZN2at6native12_GLOBAL__N_124searchsorted_cuda_kernelIilEEvPT0_PKT_S7_PKllllbb, .Lfunc_end2-_ZN2at6native12_GLOBAL__N_124searchsorted_cuda_kernelIilEEvPT0_PKT_S7_PKllllbb
                                        ; -- End function
	.set _ZN2at6native12_GLOBAL__N_124searchsorted_cuda_kernelIilEEvPT0_PKT_S7_PKllllbb.num_vgpr, 21
	.set _ZN2at6native12_GLOBAL__N_124searchsorted_cuda_kernelIilEEvPT0_PKT_S7_PKllllbb.num_agpr, 0
	.set _ZN2at6native12_GLOBAL__N_124searchsorted_cuda_kernelIilEEvPT0_PKT_S7_PKllllbb.numbered_sgpr, 42
	.set _ZN2at6native12_GLOBAL__N_124searchsorted_cuda_kernelIilEEvPT0_PKT_S7_PKllllbb.num_named_barrier, 0
	.set _ZN2at6native12_GLOBAL__N_124searchsorted_cuda_kernelIilEEvPT0_PKT_S7_PKllllbb.private_seg_size, 0
	.set _ZN2at6native12_GLOBAL__N_124searchsorted_cuda_kernelIilEEvPT0_PKT_S7_PKllllbb.uses_vcc, 1
	.set _ZN2at6native12_GLOBAL__N_124searchsorted_cuda_kernelIilEEvPT0_PKT_S7_PKllllbb.uses_flat_scratch, 0
	.set _ZN2at6native12_GLOBAL__N_124searchsorted_cuda_kernelIilEEvPT0_PKT_S7_PKllllbb.has_dyn_sized_stack, 0
	.set _ZN2at6native12_GLOBAL__N_124searchsorted_cuda_kernelIilEEvPT0_PKT_S7_PKllllbb.has_recursion, 0
	.set _ZN2at6native12_GLOBAL__N_124searchsorted_cuda_kernelIilEEvPT0_PKT_S7_PKllllbb.has_indirect_call, 0
	.section	.AMDGPU.csdata,"",@progbits
; Kernel info:
; codeLenInByte = 1520
; TotalNumSgprs: 44
; NumVgprs: 21
; ScratchSize: 0
; MemoryBound: 0
; FloatMode: 240
; IeeeMode: 1
; LDSByteSize: 0 bytes/workgroup (compile time only)
; SGPRBlocks: 0
; VGPRBlocks: 1
; NumSGPRsForWavesPerEU: 44
; NumVGPRsForWavesPerEU: 21
; NamedBarCnt: 0
; Occupancy: 16
; WaveLimiterHint : 0
; COMPUTE_PGM_RSRC2:SCRATCH_EN: 0
; COMPUTE_PGM_RSRC2:USER_SGPR: 2
; COMPUTE_PGM_RSRC2:TRAP_HANDLER: 0
; COMPUTE_PGM_RSRC2:TGID_X_EN: 1
; COMPUTE_PGM_RSRC2:TGID_Y_EN: 0
; COMPUTE_PGM_RSRC2:TGID_Z_EN: 0
; COMPUTE_PGM_RSRC2:TIDIG_COMP_CNT: 0
	.section	.text._ZN2at6native12_GLOBAL__N_124searchsorted_cuda_kernelIllEEvPT0_PKT_S7_PKllllbb,"axG",@progbits,_ZN2at6native12_GLOBAL__N_124searchsorted_cuda_kernelIllEEvPT0_PKT_S7_PKllllbb,comdat
	.globl	_ZN2at6native12_GLOBAL__N_124searchsorted_cuda_kernelIllEEvPT0_PKT_S7_PKllllbb ; -- Begin function _ZN2at6native12_GLOBAL__N_124searchsorted_cuda_kernelIllEEvPT0_PKT_S7_PKllllbb
	.p2align	8
	.type	_ZN2at6native12_GLOBAL__N_124searchsorted_cuda_kernelIllEEvPT0_PKT_S7_PKllllbb,@function
_ZN2at6native12_GLOBAL__N_124searchsorted_cuda_kernelIllEEvPT0_PKT_S7_PKllllbb: ; @_ZN2at6native12_GLOBAL__N_124searchsorted_cuda_kernelIllEEvPT0_PKT_S7_PKllllbb
; %bb.0:
	s_clause 0x1
	s_load_b32 s2, s[0:1], 0x4c
	s_load_b128 s[12:15], s[0:1], 0x30
	s_bfe_u32 s3, ttmp6, 0x4000c
	v_mov_b32_e32 v2, 0
	s_add_co_i32 s3, s3, 1
	s_and_b32 s4, ttmp6, 15
	s_mul_i32 s3, ttmp9, s3
	s_getreg_b32 s5, hwreg(HW_REG_IB_STS2, 6, 4)
	v_mov_b32_e32 v1, v2
	s_add_co_i32 s4, s4, s3
	s_wait_kmcnt 0x0
	s_and_b32 s2, s2, 0xffff
	s_cmp_eq_u32 s5, 0
	s_cselect_b32 s3, ttmp9, s4
	s_mov_b32 s4, exec_lo
	v_mad_nc_u64_u32 v[0:1], s2, s3, v[0:1]
	s_mov_b32 s3, 0
	s_delay_alu instid0(VALU_DEP_1)
	v_cmpx_gt_i64_e64 s[12:13], v[0:1]
	s_cbranch_execz .LBB3_28
; %bb.1:
	s_clause 0x2
	s_load_b128 s[16:19], s[0:1], 0x20
	s_load_b32 s14, s[0:1], 0x38
	s_load_b256 s[4:11], s[0:1], 0x0
	s_mov_b32 s21, s3
	s_mov_b32 s29, 0
	s_wait_kmcnt 0x0
	v_cvt_f32_u32_e32 v3, s16
	s_bitcmp1_b32 s14, 0
	v_cmp_gt_i64_e64 s28, s[18:19], 0
	s_cselect_b32 s15, -1, 0
	v_rcp_iflag_f32_e32 v3, v3
	s_xor_b32 s26, s15, -1
	s_bitcmp1_b32 s14, 8
	s_cselect_b32 s14, -1, 0
	v_cndmask_b32_e64 v20, 0, 1, s28
	s_xor_b32 s27, s14, -1
	s_delay_alu instid0(TRANS32_DEP_1)
	v_mul_f32_e32 v3, 0x4f7ffffe, v3
	s_cmp_lg_u64 s[10:11], 0
	s_add_nc_u64 s[14:15], s[0:1], 64
	s_cselect_b32 s1, -1, 0
	s_sub_co_i32 s0, 0, s16
	v_cvt_u32_f32_e32 v3, v3
	s_load_b32 s20, s[14:15], 0x0
	s_wait_xcnt 0x0
	s_mov_b64 s[14:15], 0xffffffff
	s_ashr_i32 s22, s17, 31
	v_mul_lo_u32 v4, s0, v3
	s_delay_alu instid0(VALU_DEP_1) | instskip(SKIP_2) | instid1(VALU_DEP_1)
	v_mul_hi_u32 v4, v3, v4
	s_wait_kmcnt 0x0
	s_mul_i32 s20, s20, s2
	v_add_nc_u32_e32 v21, v3, v4
	s_branch .LBB3_4
.LBB3_2:                                ;   in Loop: Header=BB3_4 Depth=1
	s_or_b32 exec_lo, exec_lo, s0
.LBB3_3:                                ;   in Loop: Header=BB3_4 Depth=1
	s_wait_loadcnt 0x0
	s_wait_xcnt 0x0
	v_lshl_add_u64 v[6:7], v[0:1], 3, s[4:5]
	v_add_nc_u64_e32 v[0:1], s[20:21], v[0:1]
	v_sub_nc_u64_e32 v[4:5], v[10:11], v[4:5]
	s_delay_alu instid0(VALU_DEP_2)
	v_cmp_le_i64_e32 vcc_lo, s[12:13], v[0:1]
	global_store_b64 v[6:7], v[4:5], off
	s_or_b32 s29, vcc_lo, s29
	s_wait_xcnt 0x0
	s_and_not1_b32 exec_lo, exec_lo, s29
	s_cbranch_execz .LBB3_28
.LBB3_4:                                ; =>This Loop Header: Depth=1
                                        ;     Child Loop BB3_14 Depth 2
                                        ;     Child Loop BB3_24 Depth 2
	v_mov_b64_e32 v[4:5], 0
	s_and_not1_b32 vcc_lo, exec_lo, s27
	s_cbranch_vccnz .LBB3_10
; %bb.5:                                ;   in Loop: Header=BB3_4 Depth=1
	v_or_b32_e32 v3, s17, v1
                                        ; implicit-def: $vgpr4_vgpr5
	s_mov_b32 s0, exec_lo
	s_delay_alu instid0(VALU_DEP_1)
	v_cmpx_ne_u64_e32 0, v[2:3]
	s_xor_b32 s30, exec_lo, s0
	s_cbranch_execz .LBB3_7
; %bb.6:                                ;   in Loop: Header=BB3_4 Depth=1
	s_mov_b32 s23, s22
	v_dual_mov_b32 v9, v2 :: v_dual_ashrrev_i32 v4, 31, v1
	s_add_nc_u64 s[24:25], s[16:17], s[22:23]
	s_delay_alu instid0(SALU_CYCLE_1) | instskip(NEXT) | instid1(VALU_DEP_1)
	s_xor_b64 s[24:25], s[24:25], s[22:23]
	v_mov_b32_e32 v5, v4
	s_cvt_f32_u32 s0, s24
	s_cvt_f32_u32 s2, s25
	s_sub_nc_u64 s[36:37], 0, s[24:25]
	s_delay_alu instid0(VALU_DEP_1) | instskip(NEXT) | instid1(SALU_CYCLE_1)
	v_add_nc_u64_e32 v[6:7], v[0:1], v[4:5]
	s_fmamk_f32 s0, s2, 0x4f800000, s0
	v_mov_b32_e32 v13, v2
	s_delay_alu instid0(SALU_CYCLE_2) | instskip(NEXT) | instid1(VALU_DEP_2)
	v_s_rcp_f32 s0, s0
	v_xor_b32_e32 v8, v6, v4
	s_delay_alu instid0(VALU_DEP_3) | instskip(SKIP_1) | instid1(TRANS32_DEP_1)
	v_dual_mov_b32 v17, v2 :: v_dual_bitop2_b32 v12, v7, v4 bitop3:0x14
	v_xor_b32_e32 v4, s22, v4
	s_mul_f32 s0, s0, 0x5f7ffffc
	s_delay_alu instid0(SALU_CYCLE_3) | instskip(NEXT) | instid1(SALU_CYCLE_3)
	s_mul_f32 s2, s0, 0x2f800000
	s_trunc_f32 s2, s2
	s_delay_alu instid0(SALU_CYCLE_3) | instskip(SKIP_1) | instid1(SALU_CYCLE_2)
	s_fmamk_f32 s0, s2, 0xcf800000, s0
	s_cvt_u32_f32 s35, s2
	s_cvt_u32_f32 s34, s0
	s_delay_alu instid0(SALU_CYCLE_3) | instskip(NEXT) | instid1(SALU_CYCLE_1)
	s_mul_u64 s[38:39], s[36:37], s[34:35]
	s_mul_hi_u32 s41, s34, s39
	s_mul_i32 s40, s34, s39
	s_mul_hi_u32 s2, s34, s38
	s_mul_i32 s23, s35, s38
	s_add_nc_u64 s[40:41], s[2:3], s[40:41]
	s_mul_hi_u32 s0, s35, s38
	s_mul_hi_u32 s31, s35, s39
	s_add_co_u32 s2, s40, s23
	s_add_co_ci_u32 s2, s41, s0
	s_mul_i32 s38, s35, s39
	s_add_co_ci_u32 s39, s31, 0
	s_delay_alu instid0(SALU_CYCLE_1) | instskip(NEXT) | instid1(SALU_CYCLE_1)
	s_add_nc_u64 s[38:39], s[2:3], s[38:39]
	s_add_co_u32 s34, s34, s38
	s_cselect_b32 s0, -1, 0
	s_delay_alu instid0(SALU_CYCLE_1) | instskip(SKIP_1) | instid1(SALU_CYCLE_1)
	s_cmp_lg_u32 s0, 0
	s_add_co_ci_u32 s35, s35, s39
	s_mul_u64 s[36:37], s[36:37], s[34:35]
	s_delay_alu instid0(SALU_CYCLE_1)
	s_mul_hi_u32 s39, s34, s37
	s_mul_i32 s38, s34, s37
	s_mul_hi_u32 s2, s34, s36
	s_mul_i32 s23, s35, s36
	s_add_nc_u64 s[38:39], s[2:3], s[38:39]
	s_mul_hi_u32 s0, s35, s36
	s_mul_hi_u32 s31, s35, s37
	s_add_co_u32 s2, s38, s23
	s_add_co_ci_u32 s2, s39, s0
	s_mul_i32 s36, s35, s37
	s_add_co_ci_u32 s37, s31, 0
	s_delay_alu instid0(SALU_CYCLE_1) | instskip(NEXT) | instid1(SALU_CYCLE_1)
	s_add_nc_u64 s[36:37], s[2:3], s[36:37]
	s_add_co_u32 s0, s34, s36
	s_cselect_b32 s2, -1, 0
	v_mul_hi_u32 v16, v8, s0
	s_cmp_lg_u32 s2, 0
	s_add_co_ci_u32 s2, s35, s37
	s_and_b64 s[34:35], s[0:1], s[14:15]
	v_mul_u64_e32 v[10:11], s[2:3], v[8:9]
	v_mul_u64_e32 v[6:7], s[34:35], v[12:13]
	;; [unrolled: 1-line block ×3, first 2 shown]
	s_delay_alu instid0(VALU_DEP_3) | instskip(NEXT) | instid1(VALU_DEP_1)
	v_add_nc_u64_e32 v[10:11], v[16:17], v[10:11]
	v_add_co_u32 v3, vcc_lo, v10, v6
	s_delay_alu instid0(VALU_DEP_2) | instskip(NEXT) | instid1(VALU_DEP_4)
	v_add_co_ci_u32_e32 v16, vcc_lo, v11, v7, vcc_lo
	v_add_co_ci_u32_e32 v15, vcc_lo, 0, v15, vcc_lo
	s_delay_alu instid0(VALU_DEP_1) | instskip(NEXT) | instid1(VALU_DEP_1)
	v_add_nc_u64_e32 v[6:7], v[16:17], v[14:15]
	v_mul_u64_e32 v[10:11], s[24:25], v[6:7]
	s_delay_alu instid0(VALU_DEP_1) | instskip(NEXT) | instid1(VALU_DEP_2)
	v_sub_nc_u32_e32 v3, v12, v11
	v_sub_co_u32 v5, vcc_lo, v8, v10
	s_delay_alu instid0(VALU_DEP_1) | instskip(NEXT) | instid1(VALU_DEP_3)
	v_sub_co_ci_u32_e64 v12, null, v12, v11, vcc_lo
	v_subrev_co_ci_u32_e64 v3, null, s25, v3, vcc_lo
	s_delay_alu instid0(VALU_DEP_3) | instskip(SKIP_1) | instid1(VALU_DEP_3)
	v_sub_co_u32 v8, s0, v5, s24
	v_add_nc_u64_e32 v[10:11], 1, v[6:7]
	v_subrev_co_ci_u32_e64 v3, null, 0, v3, s0
	s_delay_alu instid0(VALU_DEP_3) | instskip(SKIP_1) | instid1(VALU_DEP_3)
	v_cmp_le_u32_e32 vcc_lo, s24, v8
	v_cndmask_b32_e64 v8, 0, -1, vcc_lo
	v_cmp_le_u32_e32 vcc_lo, s25, v3
	v_cndmask_b32_e64 v9, 0, -1, vcc_lo
	;; [unrolled: 2-line block ×4, first 2 shown]
	v_cmp_eq_u32_e32 vcc_lo, s25, v3
	v_cndmask_b32_e32 v3, v9, v8, vcc_lo
	v_cmp_eq_u32_e32 vcc_lo, s25, v12
	v_add_nc_u64_e32 v[8:9], 2, v[6:7]
	v_cndmask_b32_e32 v5, v13, v5, vcc_lo
	s_delay_alu instid0(VALU_DEP_4) | instskip(NEXT) | instid1(VALU_DEP_2)
	v_cmp_ne_u32_e32 vcc_lo, 0, v3
	v_cmp_ne_u32_e64 s0, 0, v5
	s_delay_alu instid0(VALU_DEP_4) | instskip(NEXT) | instid1(VALU_DEP_1)
	v_dual_cndmask_b32 v3, v11, v9, vcc_lo :: v_dual_cndmask_b32 v5, v10, v8, vcc_lo
	v_dual_cndmask_b32 v6, v6, v5, s0 :: v_dual_mov_b32 v5, v4
	s_delay_alu instid0(VALU_DEP_1) | instskip(NEXT) | instid1(VALU_DEP_1)
	v_dual_cndmask_b32 v3, v7, v3, s0 :: v_dual_bitop2_b32 v6, v6, v4 bitop3:0x14
	v_xor_b32_e32 v7, v3, v4
	s_delay_alu instid0(VALU_DEP_1)
	v_sub_nc_u64_e32 v[4:5], v[6:7], v[4:5]
.LBB3_7:                                ;   in Loop: Header=BB3_4 Depth=1
	s_and_not1_saveexec_b32 s0, s30
	s_cbranch_execz .LBB3_9
; %bb.8:                                ;   in Loop: Header=BB3_4 Depth=1
	v_mul_hi_u32 v3, v0, v21
	s_delay_alu instid0(VALU_DEP_1) | instskip(NEXT) | instid1(VALU_DEP_1)
	v_mul_lo_u32 v4, v3, s16
	v_dual_add_nc_u32 v5, 1, v3 :: v_dual_sub_nc_u32 v4, v0, v4
	s_delay_alu instid0(VALU_DEP_1) | instskip(SKIP_1) | instid1(VALU_DEP_2)
	v_subrev_nc_u32_e32 v6, s16, v4
	v_cmp_le_u32_e32 vcc_lo, s16, v4
	v_dual_cndmask_b32 v4, v4, v6 :: v_dual_cndmask_b32 v3, v3, v5
	s_delay_alu instid0(VALU_DEP_1) | instskip(NEXT) | instid1(VALU_DEP_2)
	v_cmp_le_u32_e32 vcc_lo, s16, v4
	v_add_nc_u32_e32 v5, 1, v3
	s_delay_alu instid0(VALU_DEP_1)
	v_dual_cndmask_b32 v4, v3, v5 :: v_dual_mov_b32 v5, v2
.LBB3_9:                                ;   in Loop: Header=BB3_4 Depth=1
	s_or_b32 exec_lo, exec_lo, s0
	s_delay_alu instid0(VALU_DEP_1)
	v_mul_u64_e32 v[4:5], s[18:19], v[4:5]
.LBB3_10:                               ;   in Loop: Header=BB3_4 Depth=1
	v_lshl_add_u64 v[6:7], v[0:1], 3, s[6:7]
	s_delay_alu instid0(VALU_DEP_2)
	v_add_nc_u64_e32 v[8:9], s[18:19], v[4:5]
	v_cmp_ne_u32_e64 s0, 1, v20
	s_and_not1_b32 vcc_lo, exec_lo, s26
	s_mov_b32 s2, -1
	global_load_b64 v[6:7], v[6:7], off
                                        ; implicit-def: $vgpr10_vgpr11
	s_cbranch_vccnz .LBB3_20
; %bb.11:                               ;   in Loop: Header=BB3_4 Depth=1
	v_mov_b64_e32 v[10:11], v[4:5]
	s_and_b32 vcc_lo, exec_lo, s0
	s_cbranch_vccnz .LBB3_19
; %bb.12:                               ;   in Loop: Header=BB3_4 Depth=1
	v_mov_b64_e32 v[10:11], v[4:5]
	v_mov_b64_e32 v[14:15], v[8:9]
	v_lshl_add_u64 v[12:13], v[4:5], 3, s[8:9]
	s_mov_b32 s0, 0
	s_branch .LBB3_14
.LBB3_13:                               ;   in Loop: Header=BB3_14 Depth=2
	global_load_b64 v[18:19], v[18:19], off
	s_wait_loadcnt 0x0
	v_cmp_lt_i64_e32 vcc_lo, v[18:19], v[6:7]
	s_wait_xcnt 0x0
	v_add_nc_u64_e32 v[18:19], 1, v[16:17]
	v_dual_cndmask_b32 v15, v17, v15 :: v_dual_cndmask_b32 v14, v16, v14
	s_delay_alu instid0(VALU_DEP_2) | instskip(NEXT) | instid1(VALU_DEP_1)
	v_dual_cndmask_b32 v11, v11, v19 :: v_dual_cndmask_b32 v10, v10, v18
	v_cmp_ge_i64_e32 vcc_lo, v[10:11], v[14:15]
	s_or_b32 s0, vcc_lo, s0
	s_delay_alu instid0(SALU_CYCLE_1)
	s_and_not1_b32 exec_lo, exec_lo, s0
	s_cbranch_execz .LBB3_18
.LBB3_14:                               ;   Parent Loop BB3_4 Depth=1
                                        ; =>  This Inner Loop Header: Depth=2
	s_delay_alu instid0(VALU_DEP_2) | instskip(SKIP_1) | instid1(VALU_DEP_1)
	v_sub_nc_u64_e32 v[16:17], v[14:15], v[10:11]
	s_and_not1_b32 vcc_lo, exec_lo, s1
	v_lshrrev_b64 v[16:17], 1, v[16:17]
	s_delay_alu instid0(VALU_DEP_1)
	v_add_nc_u64_e32 v[16:17], v[16:17], v[10:11]
	s_cbranch_vccnz .LBB3_16
; %bb.15:                               ;   in Loop: Header=BB3_14 Depth=2
	s_delay_alu instid0(VALU_DEP_1)
	v_lshl_add_u64 v[18:19], v[16:17], 3, s[10:11]
	global_load_b64 v[18:19], v[18:19], off
	s_wait_loadcnt 0x0
	s_wait_xcnt 0x0
	v_lshl_add_u64 v[18:19], v[18:19], 3, v[12:13]
	s_cbranch_execnz .LBB3_13
	s_branch .LBB3_17
.LBB3_16:                               ;   in Loop: Header=BB3_14 Depth=2
                                        ; implicit-def: $vgpr18_vgpr19
.LBB3_17:                               ;   in Loop: Header=BB3_14 Depth=2
	s_delay_alu instid0(VALU_DEP_1)
	v_lshl_add_u64 v[18:19], v[16:17], 3, s[8:9]
	s_branch .LBB3_13
.LBB3_18:                               ;   in Loop: Header=BB3_4 Depth=1
	s_or_b32 exec_lo, exec_lo, s0
.LBB3_19:                               ;   in Loop: Header=BB3_4 Depth=1
	s_mov_b32 s2, 0
.LBB3_20:                               ;   in Loop: Header=BB3_4 Depth=1
	s_delay_alu instid0(SALU_CYCLE_1)
	s_and_not1_b32 vcc_lo, exec_lo, s2
	s_cbranch_vccnz .LBB3_3
; %bb.21:                               ;   in Loop: Header=BB3_4 Depth=1
	v_mov_b64_e32 v[10:11], v[4:5]
	s_and_not1_b32 vcc_lo, exec_lo, s28
	s_cbranch_vccnz .LBB3_3
; %bb.22:                               ;   in Loop: Header=BB3_4 Depth=1
	v_mov_b64_e32 v[10:11], v[4:5]
	v_lshl_add_u64 v[12:13], v[4:5], 3, s[8:9]
	s_mov_b32 s0, 0
	s_branch .LBB3_24
.LBB3_23:                               ;   in Loop: Header=BB3_24 Depth=2
	global_load_b64 v[16:17], v[16:17], off
	s_wait_loadcnt 0x0
	v_cmp_gt_i64_e32 vcc_lo, v[16:17], v[6:7]
	s_wait_xcnt 0x0
	v_add_nc_u64_e32 v[16:17], 1, v[14:15]
	v_dual_cndmask_b32 v9, v9, v15 :: v_dual_cndmask_b32 v8, v8, v14
	s_delay_alu instid0(VALU_DEP_2) | instskip(NEXT) | instid1(VALU_DEP_1)
	v_dual_cndmask_b32 v11, v17, v11 :: v_dual_cndmask_b32 v10, v16, v10
	v_cmp_ge_i64_e32 vcc_lo, v[10:11], v[8:9]
	s_or_b32 s0, vcc_lo, s0
	s_delay_alu instid0(SALU_CYCLE_1)
	s_and_not1_b32 exec_lo, exec_lo, s0
	s_cbranch_execz .LBB3_2
.LBB3_24:                               ;   Parent Loop BB3_4 Depth=1
                                        ; =>  This Inner Loop Header: Depth=2
	s_delay_alu instid0(VALU_DEP_2) | instskip(SKIP_1) | instid1(VALU_DEP_1)
	v_sub_nc_u64_e32 v[14:15], v[8:9], v[10:11]
	s_and_not1_b32 vcc_lo, exec_lo, s1
	v_lshrrev_b64 v[14:15], 1, v[14:15]
	s_delay_alu instid0(VALU_DEP_1)
	v_add_nc_u64_e32 v[14:15], v[14:15], v[10:11]
	s_cbranch_vccnz .LBB3_26
; %bb.25:                               ;   in Loop: Header=BB3_24 Depth=2
	s_delay_alu instid0(VALU_DEP_1)
	v_lshl_add_u64 v[16:17], v[14:15], 3, s[10:11]
	global_load_b64 v[16:17], v[16:17], off
	s_wait_loadcnt 0x0
	s_wait_xcnt 0x0
	v_lshl_add_u64 v[16:17], v[16:17], 3, v[12:13]
	s_cbranch_execnz .LBB3_23
	s_branch .LBB3_27
.LBB3_26:                               ;   in Loop: Header=BB3_24 Depth=2
                                        ; implicit-def: $vgpr16_vgpr17
.LBB3_27:                               ;   in Loop: Header=BB3_24 Depth=2
	s_delay_alu instid0(VALU_DEP_1)
	v_lshl_add_u64 v[16:17], v[14:15], 3, s[8:9]
	s_branch .LBB3_23
.LBB3_28:
	s_endpgm
	.section	.rodata,"a",@progbits
	.p2align	6, 0x0
	.amdhsa_kernel _ZN2at6native12_GLOBAL__N_124searchsorted_cuda_kernelIllEEvPT0_PKT_S7_PKllllbb
		.amdhsa_group_segment_fixed_size 0
		.amdhsa_private_segment_fixed_size 0
		.amdhsa_kernarg_size 320
		.amdhsa_user_sgpr_count 2
		.amdhsa_user_sgpr_dispatch_ptr 0
		.amdhsa_user_sgpr_queue_ptr 0
		.amdhsa_user_sgpr_kernarg_segment_ptr 1
		.amdhsa_user_sgpr_dispatch_id 0
		.amdhsa_user_sgpr_kernarg_preload_length 0
		.amdhsa_user_sgpr_kernarg_preload_offset 0
		.amdhsa_user_sgpr_private_segment_size 0
		.amdhsa_wavefront_size32 1
		.amdhsa_uses_dynamic_stack 0
		.amdhsa_enable_private_segment 0
		.amdhsa_system_sgpr_workgroup_id_x 1
		.amdhsa_system_sgpr_workgroup_id_y 0
		.amdhsa_system_sgpr_workgroup_id_z 0
		.amdhsa_system_sgpr_workgroup_info 0
		.amdhsa_system_vgpr_workitem_id 0
		.amdhsa_next_free_vgpr 22
		.amdhsa_next_free_sgpr 42
		.amdhsa_named_barrier_count 0
		.amdhsa_reserve_vcc 1
		.amdhsa_float_round_mode_32 0
		.amdhsa_float_round_mode_16_64 0
		.amdhsa_float_denorm_mode_32 3
		.amdhsa_float_denorm_mode_16_64 3
		.amdhsa_fp16_overflow 0
		.amdhsa_memory_ordered 1
		.amdhsa_forward_progress 1
		.amdhsa_inst_pref_size 12
		.amdhsa_round_robin_scheduling 0
		.amdhsa_exception_fp_ieee_invalid_op 0
		.amdhsa_exception_fp_denorm_src 0
		.amdhsa_exception_fp_ieee_div_zero 0
		.amdhsa_exception_fp_ieee_overflow 0
		.amdhsa_exception_fp_ieee_underflow 0
		.amdhsa_exception_fp_ieee_inexact 0
		.amdhsa_exception_int_div_zero 0
	.end_amdhsa_kernel
	.section	.text._ZN2at6native12_GLOBAL__N_124searchsorted_cuda_kernelIllEEvPT0_PKT_S7_PKllllbb,"axG",@progbits,_ZN2at6native12_GLOBAL__N_124searchsorted_cuda_kernelIllEEvPT0_PKT_S7_PKllllbb,comdat
.Lfunc_end3:
	.size	_ZN2at6native12_GLOBAL__N_124searchsorted_cuda_kernelIllEEvPT0_PKT_S7_PKllllbb, .Lfunc_end3-_ZN2at6native12_GLOBAL__N_124searchsorted_cuda_kernelIllEEvPT0_PKT_S7_PKllllbb
                                        ; -- End function
	.set _ZN2at6native12_GLOBAL__N_124searchsorted_cuda_kernelIllEEvPT0_PKT_S7_PKllllbb.num_vgpr, 22
	.set _ZN2at6native12_GLOBAL__N_124searchsorted_cuda_kernelIllEEvPT0_PKT_S7_PKllllbb.num_agpr, 0
	.set _ZN2at6native12_GLOBAL__N_124searchsorted_cuda_kernelIllEEvPT0_PKT_S7_PKllllbb.numbered_sgpr, 42
	.set _ZN2at6native12_GLOBAL__N_124searchsorted_cuda_kernelIllEEvPT0_PKT_S7_PKllllbb.num_named_barrier, 0
	.set _ZN2at6native12_GLOBAL__N_124searchsorted_cuda_kernelIllEEvPT0_PKT_S7_PKllllbb.private_seg_size, 0
	.set _ZN2at6native12_GLOBAL__N_124searchsorted_cuda_kernelIllEEvPT0_PKT_S7_PKllllbb.uses_vcc, 1
	.set _ZN2at6native12_GLOBAL__N_124searchsorted_cuda_kernelIllEEvPT0_PKT_S7_PKllllbb.uses_flat_scratch, 0
	.set _ZN2at6native12_GLOBAL__N_124searchsorted_cuda_kernelIllEEvPT0_PKT_S7_PKllllbb.has_dyn_sized_stack, 0
	.set _ZN2at6native12_GLOBAL__N_124searchsorted_cuda_kernelIllEEvPT0_PKT_S7_PKllllbb.has_recursion, 0
	.set _ZN2at6native12_GLOBAL__N_124searchsorted_cuda_kernelIllEEvPT0_PKT_S7_PKllllbb.has_indirect_call, 0
	.section	.AMDGPU.csdata,"",@progbits
; Kernel info:
; codeLenInByte = 1516
; TotalNumSgprs: 44
; NumVgprs: 22
; ScratchSize: 0
; MemoryBound: 0
; FloatMode: 240
; IeeeMode: 1
; LDSByteSize: 0 bytes/workgroup (compile time only)
; SGPRBlocks: 0
; VGPRBlocks: 1
; NumSGPRsForWavesPerEU: 44
; NumVGPRsForWavesPerEU: 22
; NamedBarCnt: 0
; Occupancy: 16
; WaveLimiterHint : 0
; COMPUTE_PGM_RSRC2:SCRATCH_EN: 0
; COMPUTE_PGM_RSRC2:USER_SGPR: 2
; COMPUTE_PGM_RSRC2:TRAP_HANDLER: 0
; COMPUTE_PGM_RSRC2:TGID_X_EN: 1
; COMPUTE_PGM_RSRC2:TGID_Y_EN: 0
; COMPUTE_PGM_RSRC2:TGID_Z_EN: 0
; COMPUTE_PGM_RSRC2:TIDIG_COMP_CNT: 0
	.section	.text._ZN2at6native12_GLOBAL__N_124searchsorted_cuda_kernelIslEEvPT0_PKT_S7_PKllllbb,"axG",@progbits,_ZN2at6native12_GLOBAL__N_124searchsorted_cuda_kernelIslEEvPT0_PKT_S7_PKllllbb,comdat
	.globl	_ZN2at6native12_GLOBAL__N_124searchsorted_cuda_kernelIslEEvPT0_PKT_S7_PKllllbb ; -- Begin function _ZN2at6native12_GLOBAL__N_124searchsorted_cuda_kernelIslEEvPT0_PKT_S7_PKllllbb
	.p2align	8
	.type	_ZN2at6native12_GLOBAL__N_124searchsorted_cuda_kernelIslEEvPT0_PKT_S7_PKllllbb,@function
_ZN2at6native12_GLOBAL__N_124searchsorted_cuda_kernelIslEEvPT0_PKT_S7_PKllllbb: ; @_ZN2at6native12_GLOBAL__N_124searchsorted_cuda_kernelIslEEvPT0_PKT_S7_PKllllbb
; %bb.0:
	s_clause 0x1
	s_load_b32 s2, s[0:1], 0x4c
	s_load_b128 s[12:15], s[0:1], 0x30
	s_bfe_u32 s3, ttmp6, 0x4000c
	v_mov_b32_e32 v2, 0
	s_add_co_i32 s3, s3, 1
	s_and_b32 s4, ttmp6, 15
	s_mul_i32 s3, ttmp9, s3
	s_getreg_b32 s5, hwreg(HW_REG_IB_STS2, 6, 4)
	v_mov_b32_e32 v1, v2
	s_add_co_i32 s4, s4, s3
	s_wait_kmcnt 0x0
	s_and_b32 s2, s2, 0xffff
	s_cmp_eq_u32 s5, 0
	s_cselect_b32 s3, ttmp9, s4
	s_mov_b32 s4, exec_lo
	v_mad_nc_u64_u32 v[0:1], s2, s3, v[0:1]
	s_mov_b32 s3, 0
	s_delay_alu instid0(VALU_DEP_1)
	v_cmpx_gt_i64_e64 s[12:13], v[0:1]
	s_cbranch_execz .LBB4_28
; %bb.1:
	s_clause 0x2
	s_load_b128 s[16:19], s[0:1], 0x20
	s_load_b32 s14, s[0:1], 0x38
	s_load_b256 s[4:11], s[0:1], 0x0
	s_mov_b32 s21, s3
	s_mov_b32 s29, 0
	s_wait_kmcnt 0x0
	v_cvt_f32_u32_e32 v3, s16
	s_bitcmp1_b32 s14, 0
	v_cmp_gt_i64_e64 s28, s[18:19], 0
	s_cselect_b32 s15, -1, 0
	v_rcp_iflag_f32_e32 v3, v3
	s_xor_b32 s26, s15, -1
	s_bitcmp1_b32 s14, 8
	s_cselect_b32 s14, -1, 0
	v_cndmask_b32_e64 v18, 0, 1, s28
	s_xor_b32 s27, s14, -1
	s_delay_alu instid0(TRANS32_DEP_1)
	v_mul_f32_e32 v3, 0x4f7ffffe, v3
	s_cmp_lg_u64 s[10:11], 0
	s_add_nc_u64 s[14:15], s[0:1], 64
	s_cselect_b32 s1, -1, 0
	s_sub_co_i32 s0, 0, s16
	v_cvt_u32_f32_e32 v3, v3
	s_load_b32 s20, s[14:15], 0x0
	s_wait_xcnt 0x0
	s_mov_b64 s[14:15], 0xffffffff
	s_ashr_i32 s22, s17, 31
	v_mul_lo_u32 v4, s0, v3
	s_delay_alu instid0(VALU_DEP_1) | instskip(SKIP_2) | instid1(VALU_DEP_1)
	v_mul_hi_u32 v4, v3, v4
	s_wait_kmcnt 0x0
	s_mul_i32 s20, s20, s2
	v_add_nc_u32_e32 v19, v3, v4
	s_branch .LBB4_4
.LBB4_2:                                ;   in Loop: Header=BB4_4 Depth=1
	s_or_b32 exec_lo, exec_lo, s0
.LBB4_3:                                ;   in Loop: Header=BB4_4 Depth=1
	v_lshl_add_u64 v[6:7], v[0:1], 3, s[4:5]
	v_add_nc_u64_e32 v[0:1], s[20:21], v[0:1]
	s_delay_alu instid0(VALU_DEP_3) | instskip(NEXT) | instid1(VALU_DEP_2)
	v_sub_nc_u64_e32 v[4:5], v[8:9], v[4:5]
	v_cmp_le_i64_e32 vcc_lo, s[12:13], v[0:1]
	global_store_b64 v[6:7], v[4:5], off
	s_or_b32 s29, vcc_lo, s29
	s_wait_xcnt 0x0
	s_and_not1_b32 exec_lo, exec_lo, s29
	s_cbranch_execz .LBB4_28
.LBB4_4:                                ; =>This Loop Header: Depth=1
                                        ;     Child Loop BB4_14 Depth 2
                                        ;     Child Loop BB4_24 Depth 2
	v_mov_b64_e32 v[4:5], 0
	s_and_not1_b32 vcc_lo, exec_lo, s27
	s_cbranch_vccnz .LBB4_10
; %bb.5:                                ;   in Loop: Header=BB4_4 Depth=1
	s_wait_loadcnt 0x0
	v_or_b32_e32 v3, s17, v1
                                        ; implicit-def: $vgpr4_vgpr5
	s_mov_b32 s0, exec_lo
	s_delay_alu instid0(VALU_DEP_1)
	v_cmpx_ne_u64_e32 0, v[2:3]
	s_xor_b32 s30, exec_lo, s0
	s_cbranch_execz .LBB4_7
; %bb.6:                                ;   in Loop: Header=BB4_4 Depth=1
	s_mov_b32 s23, s22
	v_dual_mov_b32 v9, v2 :: v_dual_ashrrev_i32 v4, 31, v1
	s_add_nc_u64 s[24:25], s[16:17], s[22:23]
	s_delay_alu instid0(SALU_CYCLE_1) | instskip(NEXT) | instid1(VALU_DEP_1)
	s_xor_b64 s[24:25], s[24:25], s[22:23]
	v_mov_b32_e32 v5, v4
	s_cvt_f32_u32 s0, s24
	s_cvt_f32_u32 s2, s25
	s_sub_nc_u64 s[36:37], 0, s[24:25]
	s_delay_alu instid0(VALU_DEP_1) | instskip(NEXT) | instid1(SALU_CYCLE_1)
	v_add_nc_u64_e32 v[6:7], v[0:1], v[4:5]
	s_fmamk_f32 s0, s2, 0x4f800000, s0
	v_mov_b32_e32 v13, v2
	s_delay_alu instid0(SALU_CYCLE_2) | instskip(NEXT) | instid1(VALU_DEP_2)
	v_s_rcp_f32 s0, s0
	v_xor_b32_e32 v8, v6, v4
	s_delay_alu instid0(VALU_DEP_3) | instskip(SKIP_1) | instid1(TRANS32_DEP_1)
	v_dual_mov_b32 v17, v2 :: v_dual_bitop2_b32 v12, v7, v4 bitop3:0x14
	v_xor_b32_e32 v4, s22, v4
	s_mul_f32 s0, s0, 0x5f7ffffc
	s_delay_alu instid0(SALU_CYCLE_3) | instskip(NEXT) | instid1(SALU_CYCLE_3)
	s_mul_f32 s2, s0, 0x2f800000
	s_trunc_f32 s2, s2
	s_delay_alu instid0(SALU_CYCLE_3) | instskip(SKIP_1) | instid1(SALU_CYCLE_2)
	s_fmamk_f32 s0, s2, 0xcf800000, s0
	s_cvt_u32_f32 s35, s2
	s_cvt_u32_f32 s34, s0
	s_delay_alu instid0(SALU_CYCLE_3) | instskip(NEXT) | instid1(SALU_CYCLE_1)
	s_mul_u64 s[38:39], s[36:37], s[34:35]
	s_mul_hi_u32 s41, s34, s39
	s_mul_i32 s40, s34, s39
	s_mul_hi_u32 s2, s34, s38
	s_mul_i32 s23, s35, s38
	s_add_nc_u64 s[40:41], s[2:3], s[40:41]
	s_mul_hi_u32 s0, s35, s38
	s_mul_hi_u32 s31, s35, s39
	s_add_co_u32 s2, s40, s23
	s_add_co_ci_u32 s2, s41, s0
	s_mul_i32 s38, s35, s39
	s_add_co_ci_u32 s39, s31, 0
	s_delay_alu instid0(SALU_CYCLE_1) | instskip(NEXT) | instid1(SALU_CYCLE_1)
	s_add_nc_u64 s[38:39], s[2:3], s[38:39]
	s_add_co_u32 s34, s34, s38
	s_cselect_b32 s0, -1, 0
	s_delay_alu instid0(SALU_CYCLE_1) | instskip(SKIP_1) | instid1(SALU_CYCLE_1)
	s_cmp_lg_u32 s0, 0
	s_add_co_ci_u32 s35, s35, s39
	s_mul_u64 s[36:37], s[36:37], s[34:35]
	s_delay_alu instid0(SALU_CYCLE_1)
	s_mul_hi_u32 s39, s34, s37
	s_mul_i32 s38, s34, s37
	s_mul_hi_u32 s2, s34, s36
	s_mul_i32 s23, s35, s36
	s_add_nc_u64 s[38:39], s[2:3], s[38:39]
	s_mul_hi_u32 s0, s35, s36
	s_mul_hi_u32 s31, s35, s37
	s_add_co_u32 s2, s38, s23
	s_add_co_ci_u32 s2, s39, s0
	s_mul_i32 s36, s35, s37
	s_add_co_ci_u32 s37, s31, 0
	s_delay_alu instid0(SALU_CYCLE_1) | instskip(NEXT) | instid1(SALU_CYCLE_1)
	s_add_nc_u64 s[36:37], s[2:3], s[36:37]
	s_add_co_u32 s0, s34, s36
	s_cselect_b32 s2, -1, 0
	v_mul_hi_u32 v16, v8, s0
	s_cmp_lg_u32 s2, 0
	s_add_co_ci_u32 s2, s35, s37
	s_and_b64 s[34:35], s[0:1], s[14:15]
	v_mul_u64_e32 v[10:11], s[2:3], v[8:9]
	v_mul_u64_e32 v[6:7], s[34:35], v[12:13]
	;; [unrolled: 1-line block ×3, first 2 shown]
	s_delay_alu instid0(VALU_DEP_3) | instskip(NEXT) | instid1(VALU_DEP_1)
	v_add_nc_u64_e32 v[10:11], v[16:17], v[10:11]
	v_add_co_u32 v3, vcc_lo, v10, v6
	s_delay_alu instid0(VALU_DEP_2) | instskip(NEXT) | instid1(VALU_DEP_4)
	v_add_co_ci_u32_e32 v16, vcc_lo, v11, v7, vcc_lo
	v_add_co_ci_u32_e32 v15, vcc_lo, 0, v15, vcc_lo
	s_delay_alu instid0(VALU_DEP_1) | instskip(NEXT) | instid1(VALU_DEP_1)
	v_add_nc_u64_e32 v[6:7], v[16:17], v[14:15]
	v_mul_u64_e32 v[10:11], s[24:25], v[6:7]
	s_delay_alu instid0(VALU_DEP_1) | instskip(NEXT) | instid1(VALU_DEP_2)
	v_sub_nc_u32_e32 v3, v12, v11
	v_sub_co_u32 v5, vcc_lo, v8, v10
	s_delay_alu instid0(VALU_DEP_1) | instskip(NEXT) | instid1(VALU_DEP_3)
	v_sub_co_ci_u32_e64 v12, null, v12, v11, vcc_lo
	v_subrev_co_ci_u32_e64 v3, null, s25, v3, vcc_lo
	s_delay_alu instid0(VALU_DEP_3) | instskip(SKIP_1) | instid1(VALU_DEP_3)
	v_sub_co_u32 v8, s0, v5, s24
	v_add_nc_u64_e32 v[10:11], 1, v[6:7]
	v_subrev_co_ci_u32_e64 v3, null, 0, v3, s0
	s_delay_alu instid0(VALU_DEP_3) | instskip(SKIP_1) | instid1(VALU_DEP_3)
	v_cmp_le_u32_e32 vcc_lo, s24, v8
	v_cndmask_b32_e64 v8, 0, -1, vcc_lo
	v_cmp_le_u32_e32 vcc_lo, s25, v3
	v_cndmask_b32_e64 v9, 0, -1, vcc_lo
	;; [unrolled: 2-line block ×4, first 2 shown]
	v_cmp_eq_u32_e32 vcc_lo, s25, v3
	v_cndmask_b32_e32 v3, v9, v8, vcc_lo
	v_cmp_eq_u32_e32 vcc_lo, s25, v12
	v_add_nc_u64_e32 v[8:9], 2, v[6:7]
	v_cndmask_b32_e32 v5, v13, v5, vcc_lo
	s_delay_alu instid0(VALU_DEP_4) | instskip(NEXT) | instid1(VALU_DEP_2)
	v_cmp_ne_u32_e32 vcc_lo, 0, v3
	v_cmp_ne_u32_e64 s0, 0, v5
	s_delay_alu instid0(VALU_DEP_4) | instskip(NEXT) | instid1(VALU_DEP_1)
	v_dual_cndmask_b32 v3, v11, v9, vcc_lo :: v_dual_cndmask_b32 v5, v10, v8, vcc_lo
	v_dual_cndmask_b32 v6, v6, v5, s0 :: v_dual_mov_b32 v5, v4
	s_delay_alu instid0(VALU_DEP_1) | instskip(NEXT) | instid1(VALU_DEP_1)
	v_dual_cndmask_b32 v3, v7, v3, s0 :: v_dual_bitop2_b32 v6, v6, v4 bitop3:0x14
	v_xor_b32_e32 v7, v3, v4
	s_delay_alu instid0(VALU_DEP_1)
	v_sub_nc_u64_e32 v[4:5], v[6:7], v[4:5]
.LBB4_7:                                ;   in Loop: Header=BB4_4 Depth=1
	s_and_not1_saveexec_b32 s0, s30
	s_cbranch_execz .LBB4_9
; %bb.8:                                ;   in Loop: Header=BB4_4 Depth=1
	v_mul_hi_u32 v3, v0, v19
	s_delay_alu instid0(VALU_DEP_1) | instskip(NEXT) | instid1(VALU_DEP_1)
	v_mul_lo_u32 v4, v3, s16
	v_dual_add_nc_u32 v5, 1, v3 :: v_dual_sub_nc_u32 v4, v0, v4
	s_delay_alu instid0(VALU_DEP_1) | instskip(SKIP_1) | instid1(VALU_DEP_2)
	v_subrev_nc_u32_e32 v6, s16, v4
	v_cmp_le_u32_e32 vcc_lo, s16, v4
	v_dual_cndmask_b32 v4, v4, v6 :: v_dual_cndmask_b32 v3, v3, v5
	s_delay_alu instid0(VALU_DEP_1) | instskip(NEXT) | instid1(VALU_DEP_2)
	v_cmp_le_u32_e32 vcc_lo, s16, v4
	v_add_nc_u32_e32 v5, 1, v3
	s_delay_alu instid0(VALU_DEP_1)
	v_dual_cndmask_b32 v4, v3, v5 :: v_dual_mov_b32 v5, v2
.LBB4_9:                                ;   in Loop: Header=BB4_4 Depth=1
	s_or_b32 exec_lo, exec_lo, s0
	s_delay_alu instid0(VALU_DEP_1)
	v_mul_u64_e32 v[4:5], s[18:19], v[4:5]
.LBB4_10:                               ;   in Loop: Header=BB4_4 Depth=1
	v_lshl_add_u64 v[6:7], v[0:1], 1, s[6:7]
	v_cmp_ne_u32_e64 s0, 1, v18
	s_and_not1_b32 vcc_lo, exec_lo, s26
	s_mov_b32 s2, -1
                                        ; implicit-def: $vgpr8_vgpr9
	s_wait_loadcnt 0x0
	global_load_u16 v3, v[6:7], off
	s_wait_xcnt 0x0
	v_add_nc_u64_e32 v[6:7], s[18:19], v[4:5]
	s_cbranch_vccnz .LBB4_20
; %bb.11:                               ;   in Loop: Header=BB4_4 Depth=1
	v_mov_b64_e32 v[8:9], v[4:5]
	s_and_b32 vcc_lo, exec_lo, s0
	s_cbranch_vccnz .LBB4_19
; %bb.12:                               ;   in Loop: Header=BB4_4 Depth=1
	v_mov_b64_e32 v[8:9], v[4:5]
	s_delay_alu instid0(VALU_DEP_3)
	v_mov_b64_e32 v[12:13], v[6:7]
	v_lshl_add_u64 v[10:11], v[4:5], 1, s[8:9]
	s_mov_b32 s0, 0
	s_branch .LBB4_14
.LBB4_13:                               ;   in Loop: Header=BB4_14 Depth=2
	global_load_u16 v20, v[16:17], off
	s_wait_xcnt 0x0
	v_add_nc_u64_e32 v[16:17], 1, v[14:15]
	s_wait_loadcnt 0x0
	v_cmp_lt_i16_e32 vcc_lo, v20, v3
	v_dual_cndmask_b32 v13, v15, v13 :: v_dual_cndmask_b32 v12, v14, v12
	s_delay_alu instid0(VALU_DEP_3) | instskip(NEXT) | instid1(VALU_DEP_1)
	v_dual_cndmask_b32 v9, v9, v17 :: v_dual_cndmask_b32 v8, v8, v16
	v_cmp_ge_i64_e32 vcc_lo, v[8:9], v[12:13]
	s_or_b32 s0, vcc_lo, s0
	s_delay_alu instid0(SALU_CYCLE_1)
	s_and_not1_b32 exec_lo, exec_lo, s0
	s_cbranch_execz .LBB4_18
.LBB4_14:                               ;   Parent Loop BB4_4 Depth=1
                                        ; =>  This Inner Loop Header: Depth=2
	s_delay_alu instid0(VALU_DEP_2) | instskip(SKIP_1) | instid1(VALU_DEP_1)
	v_sub_nc_u64_e32 v[14:15], v[12:13], v[8:9]
	s_and_not1_b32 vcc_lo, exec_lo, s1
	v_lshrrev_b64 v[14:15], 1, v[14:15]
	s_delay_alu instid0(VALU_DEP_1)
	v_add_nc_u64_e32 v[14:15], v[14:15], v[8:9]
	s_cbranch_vccnz .LBB4_16
; %bb.15:                               ;   in Loop: Header=BB4_14 Depth=2
	s_delay_alu instid0(VALU_DEP_1)
	v_lshl_add_u64 v[16:17], v[14:15], 3, s[10:11]
	global_load_b64 v[16:17], v[16:17], off
	s_wait_loadcnt 0x0
	s_wait_xcnt 0x0
	v_lshl_add_u64 v[16:17], v[16:17], 1, v[10:11]
	s_cbranch_execnz .LBB4_13
	s_branch .LBB4_17
.LBB4_16:                               ;   in Loop: Header=BB4_14 Depth=2
                                        ; implicit-def: $vgpr16_vgpr17
.LBB4_17:                               ;   in Loop: Header=BB4_14 Depth=2
	s_delay_alu instid0(VALU_DEP_1)
	v_lshl_add_u64 v[16:17], v[14:15], 1, s[8:9]
	s_branch .LBB4_13
.LBB4_18:                               ;   in Loop: Header=BB4_4 Depth=1
	s_or_b32 exec_lo, exec_lo, s0
.LBB4_19:                               ;   in Loop: Header=BB4_4 Depth=1
	s_mov_b32 s2, 0
.LBB4_20:                               ;   in Loop: Header=BB4_4 Depth=1
	s_delay_alu instid0(SALU_CYCLE_1)
	s_and_not1_b32 vcc_lo, exec_lo, s2
	s_cbranch_vccnz .LBB4_3
; %bb.21:                               ;   in Loop: Header=BB4_4 Depth=1
	v_mov_b64_e32 v[8:9], v[4:5]
	s_and_not1_b32 vcc_lo, exec_lo, s28
	s_cbranch_vccnz .LBB4_3
; %bb.22:                               ;   in Loop: Header=BB4_4 Depth=1
	v_mov_b64_e32 v[8:9], v[4:5]
	v_lshl_add_u64 v[10:11], v[4:5], 1, s[8:9]
	s_mov_b32 s0, 0
	s_branch .LBB4_24
.LBB4_23:                               ;   in Loop: Header=BB4_24 Depth=2
	global_load_u16 v16, v[14:15], off
	s_wait_xcnt 0x0
	v_add_nc_u64_e32 v[14:15], 1, v[12:13]
	s_wait_loadcnt 0x0
	v_cmp_gt_i16_e32 vcc_lo, v16, v3
	v_dual_cndmask_b32 v7, v7, v13 :: v_dual_cndmask_b32 v6, v6, v12
	s_delay_alu instid0(VALU_DEP_3) | instskip(NEXT) | instid1(VALU_DEP_1)
	v_dual_cndmask_b32 v9, v15, v9 :: v_dual_cndmask_b32 v8, v14, v8
	v_cmp_ge_i64_e32 vcc_lo, v[8:9], v[6:7]
	s_or_b32 s0, vcc_lo, s0
	s_delay_alu instid0(SALU_CYCLE_1)
	s_and_not1_b32 exec_lo, exec_lo, s0
	s_cbranch_execz .LBB4_2
.LBB4_24:                               ;   Parent Loop BB4_4 Depth=1
                                        ; =>  This Inner Loop Header: Depth=2
	s_delay_alu instid0(VALU_DEP_2) | instskip(SKIP_1) | instid1(VALU_DEP_1)
	v_sub_nc_u64_e32 v[12:13], v[6:7], v[8:9]
	s_and_not1_b32 vcc_lo, exec_lo, s1
	v_lshrrev_b64 v[12:13], 1, v[12:13]
	s_delay_alu instid0(VALU_DEP_1)
	v_add_nc_u64_e32 v[12:13], v[12:13], v[8:9]
	s_cbranch_vccnz .LBB4_26
; %bb.25:                               ;   in Loop: Header=BB4_24 Depth=2
	s_delay_alu instid0(VALU_DEP_1)
	v_lshl_add_u64 v[14:15], v[12:13], 3, s[10:11]
	global_load_b64 v[14:15], v[14:15], off
	s_wait_loadcnt 0x0
	s_wait_xcnt 0x0
	v_lshl_add_u64 v[14:15], v[14:15], 1, v[10:11]
	s_cbranch_execnz .LBB4_23
	s_branch .LBB4_27
.LBB4_26:                               ;   in Loop: Header=BB4_24 Depth=2
                                        ; implicit-def: $vgpr14_vgpr15
.LBB4_27:                               ;   in Loop: Header=BB4_24 Depth=2
	s_delay_alu instid0(VALU_DEP_1)
	v_lshl_add_u64 v[14:15], v[12:13], 1, s[8:9]
	s_branch .LBB4_23
.LBB4_28:
	s_endpgm
	.section	.rodata,"a",@progbits
	.p2align	6, 0x0
	.amdhsa_kernel _ZN2at6native12_GLOBAL__N_124searchsorted_cuda_kernelIslEEvPT0_PKT_S7_PKllllbb
		.amdhsa_group_segment_fixed_size 0
		.amdhsa_private_segment_fixed_size 0
		.amdhsa_kernarg_size 320
		.amdhsa_user_sgpr_count 2
		.amdhsa_user_sgpr_dispatch_ptr 0
		.amdhsa_user_sgpr_queue_ptr 0
		.amdhsa_user_sgpr_kernarg_segment_ptr 1
		.amdhsa_user_sgpr_dispatch_id 0
		.amdhsa_user_sgpr_kernarg_preload_length 0
		.amdhsa_user_sgpr_kernarg_preload_offset 0
		.amdhsa_user_sgpr_private_segment_size 0
		.amdhsa_wavefront_size32 1
		.amdhsa_uses_dynamic_stack 0
		.amdhsa_enable_private_segment 0
		.amdhsa_system_sgpr_workgroup_id_x 1
		.amdhsa_system_sgpr_workgroup_id_y 0
		.amdhsa_system_sgpr_workgroup_id_z 0
		.amdhsa_system_sgpr_workgroup_info 0
		.amdhsa_system_vgpr_workitem_id 0
		.amdhsa_next_free_vgpr 21
		.amdhsa_next_free_sgpr 42
		.amdhsa_named_barrier_count 0
		.amdhsa_reserve_vcc 1
		.amdhsa_float_round_mode_32 0
		.amdhsa_float_round_mode_16_64 0
		.amdhsa_float_denorm_mode_32 3
		.amdhsa_float_denorm_mode_16_64 3
		.amdhsa_fp16_overflow 0
		.amdhsa_memory_ordered 1
		.amdhsa_forward_progress 1
		.amdhsa_inst_pref_size 12
		.amdhsa_round_robin_scheduling 0
		.amdhsa_exception_fp_ieee_invalid_op 0
		.amdhsa_exception_fp_denorm_src 0
		.amdhsa_exception_fp_ieee_div_zero 0
		.amdhsa_exception_fp_ieee_overflow 0
		.amdhsa_exception_fp_ieee_underflow 0
		.amdhsa_exception_fp_ieee_inexact 0
		.amdhsa_exception_int_div_zero 0
	.end_amdhsa_kernel
	.section	.text._ZN2at6native12_GLOBAL__N_124searchsorted_cuda_kernelIslEEvPT0_PKT_S7_PKllllbb,"axG",@progbits,_ZN2at6native12_GLOBAL__N_124searchsorted_cuda_kernelIslEEvPT0_PKT_S7_PKllllbb,comdat
.Lfunc_end4:
	.size	_ZN2at6native12_GLOBAL__N_124searchsorted_cuda_kernelIslEEvPT0_PKT_S7_PKllllbb, .Lfunc_end4-_ZN2at6native12_GLOBAL__N_124searchsorted_cuda_kernelIslEEvPT0_PKT_S7_PKllllbb
                                        ; -- End function
	.set _ZN2at6native12_GLOBAL__N_124searchsorted_cuda_kernelIslEEvPT0_PKT_S7_PKllllbb.num_vgpr, 21
	.set _ZN2at6native12_GLOBAL__N_124searchsorted_cuda_kernelIslEEvPT0_PKT_S7_PKllllbb.num_agpr, 0
	.set _ZN2at6native12_GLOBAL__N_124searchsorted_cuda_kernelIslEEvPT0_PKT_S7_PKllllbb.numbered_sgpr, 42
	.set _ZN2at6native12_GLOBAL__N_124searchsorted_cuda_kernelIslEEvPT0_PKT_S7_PKllllbb.num_named_barrier, 0
	.set _ZN2at6native12_GLOBAL__N_124searchsorted_cuda_kernelIslEEvPT0_PKT_S7_PKllllbb.private_seg_size, 0
	.set _ZN2at6native12_GLOBAL__N_124searchsorted_cuda_kernelIslEEvPT0_PKT_S7_PKllllbb.uses_vcc, 1
	.set _ZN2at6native12_GLOBAL__N_124searchsorted_cuda_kernelIslEEvPT0_PKT_S7_PKllllbb.uses_flat_scratch, 0
	.set _ZN2at6native12_GLOBAL__N_124searchsorted_cuda_kernelIslEEvPT0_PKT_S7_PKllllbb.has_dyn_sized_stack, 0
	.set _ZN2at6native12_GLOBAL__N_124searchsorted_cuda_kernelIslEEvPT0_PKT_S7_PKllllbb.has_recursion, 0
	.set _ZN2at6native12_GLOBAL__N_124searchsorted_cuda_kernelIslEEvPT0_PKT_S7_PKllllbb.has_indirect_call, 0
	.section	.AMDGPU.csdata,"",@progbits
; Kernel info:
; codeLenInByte = 1520
; TotalNumSgprs: 44
; NumVgprs: 21
; ScratchSize: 0
; MemoryBound: 0
; FloatMode: 240
; IeeeMode: 1
; LDSByteSize: 0 bytes/workgroup (compile time only)
; SGPRBlocks: 0
; VGPRBlocks: 1
; NumSGPRsForWavesPerEU: 44
; NumVGPRsForWavesPerEU: 21
; NamedBarCnt: 0
; Occupancy: 16
; WaveLimiterHint : 0
; COMPUTE_PGM_RSRC2:SCRATCH_EN: 0
; COMPUTE_PGM_RSRC2:USER_SGPR: 2
; COMPUTE_PGM_RSRC2:TRAP_HANDLER: 0
; COMPUTE_PGM_RSRC2:TGID_X_EN: 1
; COMPUTE_PGM_RSRC2:TGID_Y_EN: 0
; COMPUTE_PGM_RSRC2:TGID_Z_EN: 0
; COMPUTE_PGM_RSRC2:TIDIG_COMP_CNT: 0
	.section	.text._ZN2at6native12_GLOBAL__N_124searchsorted_cuda_kernelIdlEEvPT0_PKT_S7_PKllllbb,"axG",@progbits,_ZN2at6native12_GLOBAL__N_124searchsorted_cuda_kernelIdlEEvPT0_PKT_S7_PKllllbb,comdat
	.globl	_ZN2at6native12_GLOBAL__N_124searchsorted_cuda_kernelIdlEEvPT0_PKT_S7_PKllllbb ; -- Begin function _ZN2at6native12_GLOBAL__N_124searchsorted_cuda_kernelIdlEEvPT0_PKT_S7_PKllllbb
	.p2align	8
	.type	_ZN2at6native12_GLOBAL__N_124searchsorted_cuda_kernelIdlEEvPT0_PKT_S7_PKllllbb,@function
_ZN2at6native12_GLOBAL__N_124searchsorted_cuda_kernelIdlEEvPT0_PKT_S7_PKllllbb: ; @_ZN2at6native12_GLOBAL__N_124searchsorted_cuda_kernelIdlEEvPT0_PKT_S7_PKllllbb
; %bb.0:
	s_clause 0x1
	s_load_b32 s2, s[0:1], 0x4c
	s_load_b128 s[12:15], s[0:1], 0x30
	s_bfe_u32 s3, ttmp6, 0x4000c
	v_mov_b32_e32 v2, 0
	s_add_co_i32 s3, s3, 1
	s_and_b32 s4, ttmp6, 15
	s_mul_i32 s3, ttmp9, s3
	s_getreg_b32 s5, hwreg(HW_REG_IB_STS2, 6, 4)
	v_mov_b32_e32 v1, v2
	s_add_co_i32 s4, s4, s3
	s_wait_kmcnt 0x0
	s_and_b32 s2, s2, 0xffff
	s_cmp_eq_u32 s5, 0
	s_cselect_b32 s3, ttmp9, s4
	s_mov_b32 s4, exec_lo
	v_mad_nc_u64_u32 v[0:1], s2, s3, v[0:1]
	s_mov_b32 s3, 0
	s_delay_alu instid0(VALU_DEP_1)
	v_cmpx_gt_i64_e64 s[12:13], v[0:1]
	s_cbranch_execz .LBB5_28
; %bb.1:
	s_clause 0x2
	s_load_b128 s[16:19], s[0:1], 0x20
	s_load_b32 s14, s[0:1], 0x38
	s_load_b256 s[4:11], s[0:1], 0x0
	s_mov_b32 s21, s3
	s_mov_b32 s29, 0
	s_wait_kmcnt 0x0
	v_cvt_f32_u32_e32 v3, s16
	s_bitcmp1_b32 s14, 0
	v_cmp_gt_i64_e64 s28, s[18:19], 0
	s_cselect_b32 s15, -1, 0
	v_rcp_iflag_f32_e32 v3, v3
	s_xor_b32 s26, s15, -1
	s_bitcmp1_b32 s14, 8
	s_cselect_b32 s14, -1, 0
	v_cndmask_b32_e64 v20, 0, 1, s28
	s_xor_b32 s27, s14, -1
	s_delay_alu instid0(TRANS32_DEP_1)
	v_mul_f32_e32 v3, 0x4f7ffffe, v3
	s_cmp_lg_u64 s[10:11], 0
	s_add_nc_u64 s[14:15], s[0:1], 64
	s_cselect_b32 s1, -1, 0
	s_sub_co_i32 s0, 0, s16
	v_cvt_u32_f32_e32 v3, v3
	s_load_b32 s20, s[14:15], 0x0
	s_wait_xcnt 0x0
	s_mov_b64 s[14:15], 0xffffffff
	s_ashr_i32 s22, s17, 31
	v_mul_lo_u32 v4, s0, v3
	s_delay_alu instid0(VALU_DEP_1) | instskip(SKIP_2) | instid1(VALU_DEP_1)
	v_mul_hi_u32 v4, v3, v4
	s_wait_kmcnt 0x0
	s_mul_i32 s20, s20, s2
	v_add_nc_u32_e32 v21, v3, v4
	s_branch .LBB5_4
.LBB5_2:                                ;   in Loop: Header=BB5_4 Depth=1
	s_or_b32 exec_lo, exec_lo, s0
.LBB5_3:                                ;   in Loop: Header=BB5_4 Depth=1
	s_wait_loadcnt 0x0
	s_wait_xcnt 0x0
	v_lshl_add_u64 v[6:7], v[0:1], 3, s[4:5]
	v_add_nc_u64_e32 v[0:1], s[20:21], v[0:1]
	v_sub_nc_u64_e32 v[4:5], v[10:11], v[4:5]
	s_delay_alu instid0(VALU_DEP_2)
	v_cmp_le_i64_e32 vcc_lo, s[12:13], v[0:1]
	global_store_b64 v[6:7], v[4:5], off
	s_or_b32 s29, vcc_lo, s29
	s_wait_xcnt 0x0
	s_and_not1_b32 exec_lo, exec_lo, s29
	s_cbranch_execz .LBB5_28
.LBB5_4:                                ; =>This Loop Header: Depth=1
                                        ;     Child Loop BB5_14 Depth 2
                                        ;     Child Loop BB5_24 Depth 2
	v_mov_b64_e32 v[4:5], 0
	s_and_not1_b32 vcc_lo, exec_lo, s27
	s_cbranch_vccnz .LBB5_10
; %bb.5:                                ;   in Loop: Header=BB5_4 Depth=1
	v_or_b32_e32 v3, s17, v1
                                        ; implicit-def: $vgpr4_vgpr5
	s_mov_b32 s0, exec_lo
	s_delay_alu instid0(VALU_DEP_1)
	v_cmpx_ne_u64_e32 0, v[2:3]
	s_xor_b32 s30, exec_lo, s0
	s_cbranch_execz .LBB5_7
; %bb.6:                                ;   in Loop: Header=BB5_4 Depth=1
	s_mov_b32 s23, s22
	v_dual_mov_b32 v9, v2 :: v_dual_ashrrev_i32 v4, 31, v1
	s_add_nc_u64 s[24:25], s[16:17], s[22:23]
	s_delay_alu instid0(SALU_CYCLE_1) | instskip(NEXT) | instid1(VALU_DEP_1)
	s_xor_b64 s[24:25], s[24:25], s[22:23]
	v_mov_b32_e32 v5, v4
	s_cvt_f32_u32 s0, s24
	s_cvt_f32_u32 s2, s25
	s_sub_nc_u64 s[36:37], 0, s[24:25]
	s_delay_alu instid0(VALU_DEP_1) | instskip(NEXT) | instid1(SALU_CYCLE_1)
	v_add_nc_u64_e32 v[6:7], v[0:1], v[4:5]
	s_fmamk_f32 s0, s2, 0x4f800000, s0
	v_mov_b32_e32 v13, v2
	s_delay_alu instid0(SALU_CYCLE_2) | instskip(NEXT) | instid1(VALU_DEP_2)
	v_s_rcp_f32 s0, s0
	v_xor_b32_e32 v8, v6, v4
	s_delay_alu instid0(VALU_DEP_3) | instskip(SKIP_1) | instid1(TRANS32_DEP_1)
	v_dual_mov_b32 v17, v2 :: v_dual_bitop2_b32 v12, v7, v4 bitop3:0x14
	v_xor_b32_e32 v4, s22, v4
	s_mul_f32 s0, s0, 0x5f7ffffc
	s_delay_alu instid0(SALU_CYCLE_3) | instskip(NEXT) | instid1(SALU_CYCLE_3)
	s_mul_f32 s2, s0, 0x2f800000
	s_trunc_f32 s2, s2
	s_delay_alu instid0(SALU_CYCLE_3) | instskip(SKIP_1) | instid1(SALU_CYCLE_2)
	s_fmamk_f32 s0, s2, 0xcf800000, s0
	s_cvt_u32_f32 s35, s2
	s_cvt_u32_f32 s34, s0
	s_delay_alu instid0(SALU_CYCLE_3) | instskip(NEXT) | instid1(SALU_CYCLE_1)
	s_mul_u64 s[38:39], s[36:37], s[34:35]
	s_mul_hi_u32 s41, s34, s39
	s_mul_i32 s40, s34, s39
	s_mul_hi_u32 s2, s34, s38
	s_mul_i32 s23, s35, s38
	s_add_nc_u64 s[40:41], s[2:3], s[40:41]
	s_mul_hi_u32 s0, s35, s38
	s_mul_hi_u32 s31, s35, s39
	s_add_co_u32 s2, s40, s23
	s_add_co_ci_u32 s2, s41, s0
	s_mul_i32 s38, s35, s39
	s_add_co_ci_u32 s39, s31, 0
	s_delay_alu instid0(SALU_CYCLE_1) | instskip(NEXT) | instid1(SALU_CYCLE_1)
	s_add_nc_u64 s[38:39], s[2:3], s[38:39]
	s_add_co_u32 s34, s34, s38
	s_cselect_b32 s0, -1, 0
	s_delay_alu instid0(SALU_CYCLE_1) | instskip(SKIP_1) | instid1(SALU_CYCLE_1)
	s_cmp_lg_u32 s0, 0
	s_add_co_ci_u32 s35, s35, s39
	s_mul_u64 s[36:37], s[36:37], s[34:35]
	s_delay_alu instid0(SALU_CYCLE_1)
	s_mul_hi_u32 s39, s34, s37
	s_mul_i32 s38, s34, s37
	s_mul_hi_u32 s2, s34, s36
	s_mul_i32 s23, s35, s36
	s_add_nc_u64 s[38:39], s[2:3], s[38:39]
	s_mul_hi_u32 s0, s35, s36
	s_mul_hi_u32 s31, s35, s37
	s_add_co_u32 s2, s38, s23
	s_add_co_ci_u32 s2, s39, s0
	s_mul_i32 s36, s35, s37
	s_add_co_ci_u32 s37, s31, 0
	s_delay_alu instid0(SALU_CYCLE_1) | instskip(NEXT) | instid1(SALU_CYCLE_1)
	s_add_nc_u64 s[36:37], s[2:3], s[36:37]
	s_add_co_u32 s0, s34, s36
	s_cselect_b32 s2, -1, 0
	v_mul_hi_u32 v16, v8, s0
	s_cmp_lg_u32 s2, 0
	s_add_co_ci_u32 s2, s35, s37
	s_and_b64 s[34:35], s[0:1], s[14:15]
	v_mul_u64_e32 v[10:11], s[2:3], v[8:9]
	v_mul_u64_e32 v[6:7], s[34:35], v[12:13]
	;; [unrolled: 1-line block ×3, first 2 shown]
	s_delay_alu instid0(VALU_DEP_3) | instskip(NEXT) | instid1(VALU_DEP_1)
	v_add_nc_u64_e32 v[10:11], v[16:17], v[10:11]
	v_add_co_u32 v3, vcc_lo, v10, v6
	s_delay_alu instid0(VALU_DEP_2) | instskip(NEXT) | instid1(VALU_DEP_4)
	v_add_co_ci_u32_e32 v16, vcc_lo, v11, v7, vcc_lo
	v_add_co_ci_u32_e32 v15, vcc_lo, 0, v15, vcc_lo
	s_delay_alu instid0(VALU_DEP_1) | instskip(NEXT) | instid1(VALU_DEP_1)
	v_add_nc_u64_e32 v[6:7], v[16:17], v[14:15]
	v_mul_u64_e32 v[10:11], s[24:25], v[6:7]
	s_delay_alu instid0(VALU_DEP_1) | instskip(NEXT) | instid1(VALU_DEP_2)
	v_sub_nc_u32_e32 v3, v12, v11
	v_sub_co_u32 v5, vcc_lo, v8, v10
	s_delay_alu instid0(VALU_DEP_1) | instskip(NEXT) | instid1(VALU_DEP_3)
	v_sub_co_ci_u32_e64 v12, null, v12, v11, vcc_lo
	v_subrev_co_ci_u32_e64 v3, null, s25, v3, vcc_lo
	s_delay_alu instid0(VALU_DEP_3) | instskip(SKIP_1) | instid1(VALU_DEP_3)
	v_sub_co_u32 v8, s0, v5, s24
	v_add_nc_u64_e32 v[10:11], 1, v[6:7]
	v_subrev_co_ci_u32_e64 v3, null, 0, v3, s0
	s_delay_alu instid0(VALU_DEP_3) | instskip(SKIP_1) | instid1(VALU_DEP_3)
	v_cmp_le_u32_e32 vcc_lo, s24, v8
	v_cndmask_b32_e64 v8, 0, -1, vcc_lo
	v_cmp_le_u32_e32 vcc_lo, s25, v3
	v_cndmask_b32_e64 v9, 0, -1, vcc_lo
	;; [unrolled: 2-line block ×4, first 2 shown]
	v_cmp_eq_u32_e32 vcc_lo, s25, v3
	v_cndmask_b32_e32 v3, v9, v8, vcc_lo
	v_cmp_eq_u32_e32 vcc_lo, s25, v12
	v_add_nc_u64_e32 v[8:9], 2, v[6:7]
	v_cndmask_b32_e32 v5, v13, v5, vcc_lo
	s_delay_alu instid0(VALU_DEP_4) | instskip(NEXT) | instid1(VALU_DEP_2)
	v_cmp_ne_u32_e32 vcc_lo, 0, v3
	v_cmp_ne_u32_e64 s0, 0, v5
	s_delay_alu instid0(VALU_DEP_4) | instskip(NEXT) | instid1(VALU_DEP_1)
	v_dual_cndmask_b32 v3, v11, v9, vcc_lo :: v_dual_cndmask_b32 v5, v10, v8, vcc_lo
	v_dual_cndmask_b32 v6, v6, v5, s0 :: v_dual_mov_b32 v5, v4
	s_delay_alu instid0(VALU_DEP_1) | instskip(NEXT) | instid1(VALU_DEP_1)
	v_dual_cndmask_b32 v3, v7, v3, s0 :: v_dual_bitop2_b32 v6, v6, v4 bitop3:0x14
	v_xor_b32_e32 v7, v3, v4
	s_delay_alu instid0(VALU_DEP_1)
	v_sub_nc_u64_e32 v[4:5], v[6:7], v[4:5]
.LBB5_7:                                ;   in Loop: Header=BB5_4 Depth=1
	s_and_not1_saveexec_b32 s0, s30
	s_cbranch_execz .LBB5_9
; %bb.8:                                ;   in Loop: Header=BB5_4 Depth=1
	v_mul_hi_u32 v3, v0, v21
	s_delay_alu instid0(VALU_DEP_1) | instskip(NEXT) | instid1(VALU_DEP_1)
	v_mul_lo_u32 v4, v3, s16
	v_dual_add_nc_u32 v5, 1, v3 :: v_dual_sub_nc_u32 v4, v0, v4
	s_delay_alu instid0(VALU_DEP_1) | instskip(SKIP_1) | instid1(VALU_DEP_2)
	v_subrev_nc_u32_e32 v6, s16, v4
	v_cmp_le_u32_e32 vcc_lo, s16, v4
	v_dual_cndmask_b32 v4, v4, v6 :: v_dual_cndmask_b32 v3, v3, v5
	s_delay_alu instid0(VALU_DEP_1) | instskip(NEXT) | instid1(VALU_DEP_2)
	v_cmp_le_u32_e32 vcc_lo, s16, v4
	v_add_nc_u32_e32 v5, 1, v3
	s_delay_alu instid0(VALU_DEP_1)
	v_dual_cndmask_b32 v4, v3, v5 :: v_dual_mov_b32 v5, v2
.LBB5_9:                                ;   in Loop: Header=BB5_4 Depth=1
	s_or_b32 exec_lo, exec_lo, s0
	s_delay_alu instid0(VALU_DEP_1)
	v_mul_u64_e32 v[4:5], s[18:19], v[4:5]
.LBB5_10:                               ;   in Loop: Header=BB5_4 Depth=1
	v_lshl_add_u64 v[6:7], v[0:1], 3, s[6:7]
	s_delay_alu instid0(VALU_DEP_2)
	v_add_nc_u64_e32 v[8:9], s[18:19], v[4:5]
	v_cmp_ne_u32_e64 s0, 1, v20
	s_and_not1_b32 vcc_lo, exec_lo, s26
	s_mov_b32 s2, -1
	global_load_b64 v[6:7], v[6:7], off
                                        ; implicit-def: $vgpr10_vgpr11
	s_cbranch_vccnz .LBB5_20
; %bb.11:                               ;   in Loop: Header=BB5_4 Depth=1
	v_mov_b64_e32 v[10:11], v[4:5]
	s_and_b32 vcc_lo, exec_lo, s0
	s_cbranch_vccnz .LBB5_19
; %bb.12:                               ;   in Loop: Header=BB5_4 Depth=1
	v_mov_b64_e32 v[10:11], v[4:5]
	v_mov_b64_e32 v[14:15], v[8:9]
	v_lshl_add_u64 v[12:13], v[4:5], 3, s[8:9]
	s_mov_b32 s0, 0
	s_branch .LBB5_14
.LBB5_13:                               ;   in Loop: Header=BB5_14 Depth=2
	global_load_b64 v[18:19], v[18:19], off
	s_wait_loadcnt 0x0
	v_cmp_nge_f64_e32 vcc_lo, v[18:19], v[6:7]
	s_wait_xcnt 0x0
	v_add_nc_u64_e32 v[18:19], 1, v[16:17]
	v_dual_cndmask_b32 v15, v17, v15 :: v_dual_cndmask_b32 v14, v16, v14
	s_delay_alu instid0(VALU_DEP_2) | instskip(NEXT) | instid1(VALU_DEP_1)
	v_dual_cndmask_b32 v11, v11, v19 :: v_dual_cndmask_b32 v10, v10, v18
	v_cmp_ge_i64_e32 vcc_lo, v[10:11], v[14:15]
	s_or_b32 s0, vcc_lo, s0
	s_delay_alu instid0(SALU_CYCLE_1)
	s_and_not1_b32 exec_lo, exec_lo, s0
	s_cbranch_execz .LBB5_18
.LBB5_14:                               ;   Parent Loop BB5_4 Depth=1
                                        ; =>  This Inner Loop Header: Depth=2
	s_delay_alu instid0(VALU_DEP_2) | instskip(SKIP_1) | instid1(VALU_DEP_1)
	v_sub_nc_u64_e32 v[16:17], v[14:15], v[10:11]
	s_and_not1_b32 vcc_lo, exec_lo, s1
	v_lshrrev_b64 v[16:17], 1, v[16:17]
	s_delay_alu instid0(VALU_DEP_1)
	v_add_nc_u64_e32 v[16:17], v[16:17], v[10:11]
	s_cbranch_vccnz .LBB5_16
; %bb.15:                               ;   in Loop: Header=BB5_14 Depth=2
	s_delay_alu instid0(VALU_DEP_1)
	v_lshl_add_u64 v[18:19], v[16:17], 3, s[10:11]
	global_load_b64 v[18:19], v[18:19], off
	s_wait_loadcnt 0x0
	s_wait_xcnt 0x0
	v_lshl_add_u64 v[18:19], v[18:19], 3, v[12:13]
	s_cbranch_execnz .LBB5_13
	s_branch .LBB5_17
.LBB5_16:                               ;   in Loop: Header=BB5_14 Depth=2
                                        ; implicit-def: $vgpr18_vgpr19
.LBB5_17:                               ;   in Loop: Header=BB5_14 Depth=2
	s_delay_alu instid0(VALU_DEP_1)
	v_lshl_add_u64 v[18:19], v[16:17], 3, s[8:9]
	s_branch .LBB5_13
.LBB5_18:                               ;   in Loop: Header=BB5_4 Depth=1
	s_or_b32 exec_lo, exec_lo, s0
.LBB5_19:                               ;   in Loop: Header=BB5_4 Depth=1
	s_mov_b32 s2, 0
.LBB5_20:                               ;   in Loop: Header=BB5_4 Depth=1
	s_delay_alu instid0(SALU_CYCLE_1)
	s_and_not1_b32 vcc_lo, exec_lo, s2
	s_cbranch_vccnz .LBB5_3
; %bb.21:                               ;   in Loop: Header=BB5_4 Depth=1
	v_mov_b64_e32 v[10:11], v[4:5]
	s_and_not1_b32 vcc_lo, exec_lo, s28
	s_cbranch_vccnz .LBB5_3
; %bb.22:                               ;   in Loop: Header=BB5_4 Depth=1
	v_mov_b64_e32 v[10:11], v[4:5]
	v_lshl_add_u64 v[12:13], v[4:5], 3, s[8:9]
	s_mov_b32 s0, 0
	s_branch .LBB5_24
.LBB5_23:                               ;   in Loop: Header=BB5_24 Depth=2
	global_load_b64 v[16:17], v[16:17], off
	s_wait_loadcnt 0x0
	v_cmp_gt_f64_e32 vcc_lo, v[16:17], v[6:7]
	s_wait_xcnt 0x0
	v_add_nc_u64_e32 v[16:17], 1, v[14:15]
	v_dual_cndmask_b32 v9, v9, v15 :: v_dual_cndmask_b32 v8, v8, v14
	s_delay_alu instid0(VALU_DEP_2) | instskip(NEXT) | instid1(VALU_DEP_1)
	v_dual_cndmask_b32 v11, v17, v11 :: v_dual_cndmask_b32 v10, v16, v10
	v_cmp_ge_i64_e32 vcc_lo, v[10:11], v[8:9]
	s_or_b32 s0, vcc_lo, s0
	s_delay_alu instid0(SALU_CYCLE_1)
	s_and_not1_b32 exec_lo, exec_lo, s0
	s_cbranch_execz .LBB5_2
.LBB5_24:                               ;   Parent Loop BB5_4 Depth=1
                                        ; =>  This Inner Loop Header: Depth=2
	s_delay_alu instid0(VALU_DEP_2) | instskip(SKIP_1) | instid1(VALU_DEP_1)
	v_sub_nc_u64_e32 v[14:15], v[8:9], v[10:11]
	s_and_not1_b32 vcc_lo, exec_lo, s1
	v_lshrrev_b64 v[14:15], 1, v[14:15]
	s_delay_alu instid0(VALU_DEP_1)
	v_add_nc_u64_e32 v[14:15], v[14:15], v[10:11]
	s_cbranch_vccnz .LBB5_26
; %bb.25:                               ;   in Loop: Header=BB5_24 Depth=2
	s_delay_alu instid0(VALU_DEP_1)
	v_lshl_add_u64 v[16:17], v[14:15], 3, s[10:11]
	global_load_b64 v[16:17], v[16:17], off
	s_wait_loadcnt 0x0
	s_wait_xcnt 0x0
	v_lshl_add_u64 v[16:17], v[16:17], 3, v[12:13]
	s_cbranch_execnz .LBB5_23
	s_branch .LBB5_27
.LBB5_26:                               ;   in Loop: Header=BB5_24 Depth=2
                                        ; implicit-def: $vgpr16_vgpr17
.LBB5_27:                               ;   in Loop: Header=BB5_24 Depth=2
	s_delay_alu instid0(VALU_DEP_1)
	v_lshl_add_u64 v[16:17], v[14:15], 3, s[8:9]
	s_branch .LBB5_23
.LBB5_28:
	s_endpgm
	.section	.rodata,"a",@progbits
	.p2align	6, 0x0
	.amdhsa_kernel _ZN2at6native12_GLOBAL__N_124searchsorted_cuda_kernelIdlEEvPT0_PKT_S7_PKllllbb
		.amdhsa_group_segment_fixed_size 0
		.amdhsa_private_segment_fixed_size 0
		.amdhsa_kernarg_size 320
		.amdhsa_user_sgpr_count 2
		.amdhsa_user_sgpr_dispatch_ptr 0
		.amdhsa_user_sgpr_queue_ptr 0
		.amdhsa_user_sgpr_kernarg_segment_ptr 1
		.amdhsa_user_sgpr_dispatch_id 0
		.amdhsa_user_sgpr_kernarg_preload_length 0
		.amdhsa_user_sgpr_kernarg_preload_offset 0
		.amdhsa_user_sgpr_private_segment_size 0
		.amdhsa_wavefront_size32 1
		.amdhsa_uses_dynamic_stack 0
		.amdhsa_enable_private_segment 0
		.amdhsa_system_sgpr_workgroup_id_x 1
		.amdhsa_system_sgpr_workgroup_id_y 0
		.amdhsa_system_sgpr_workgroup_id_z 0
		.amdhsa_system_sgpr_workgroup_info 0
		.amdhsa_system_vgpr_workitem_id 0
		.amdhsa_next_free_vgpr 22
		.amdhsa_next_free_sgpr 42
		.amdhsa_named_barrier_count 0
		.amdhsa_reserve_vcc 1
		.amdhsa_float_round_mode_32 0
		.amdhsa_float_round_mode_16_64 0
		.amdhsa_float_denorm_mode_32 3
		.amdhsa_float_denorm_mode_16_64 3
		.amdhsa_fp16_overflow 0
		.amdhsa_memory_ordered 1
		.amdhsa_forward_progress 1
		.amdhsa_inst_pref_size 12
		.amdhsa_round_robin_scheduling 0
		.amdhsa_exception_fp_ieee_invalid_op 0
		.amdhsa_exception_fp_denorm_src 0
		.amdhsa_exception_fp_ieee_div_zero 0
		.amdhsa_exception_fp_ieee_overflow 0
		.amdhsa_exception_fp_ieee_underflow 0
		.amdhsa_exception_fp_ieee_inexact 0
		.amdhsa_exception_int_div_zero 0
	.end_amdhsa_kernel
	.section	.text._ZN2at6native12_GLOBAL__N_124searchsorted_cuda_kernelIdlEEvPT0_PKT_S7_PKllllbb,"axG",@progbits,_ZN2at6native12_GLOBAL__N_124searchsorted_cuda_kernelIdlEEvPT0_PKT_S7_PKllllbb,comdat
.Lfunc_end5:
	.size	_ZN2at6native12_GLOBAL__N_124searchsorted_cuda_kernelIdlEEvPT0_PKT_S7_PKllllbb, .Lfunc_end5-_ZN2at6native12_GLOBAL__N_124searchsorted_cuda_kernelIdlEEvPT0_PKT_S7_PKllllbb
                                        ; -- End function
	.set _ZN2at6native12_GLOBAL__N_124searchsorted_cuda_kernelIdlEEvPT0_PKT_S7_PKllllbb.num_vgpr, 22
	.set _ZN2at6native12_GLOBAL__N_124searchsorted_cuda_kernelIdlEEvPT0_PKT_S7_PKllllbb.num_agpr, 0
	.set _ZN2at6native12_GLOBAL__N_124searchsorted_cuda_kernelIdlEEvPT0_PKT_S7_PKllllbb.numbered_sgpr, 42
	.set _ZN2at6native12_GLOBAL__N_124searchsorted_cuda_kernelIdlEEvPT0_PKT_S7_PKllllbb.num_named_barrier, 0
	.set _ZN2at6native12_GLOBAL__N_124searchsorted_cuda_kernelIdlEEvPT0_PKT_S7_PKllllbb.private_seg_size, 0
	.set _ZN2at6native12_GLOBAL__N_124searchsorted_cuda_kernelIdlEEvPT0_PKT_S7_PKllllbb.uses_vcc, 1
	.set _ZN2at6native12_GLOBAL__N_124searchsorted_cuda_kernelIdlEEvPT0_PKT_S7_PKllllbb.uses_flat_scratch, 0
	.set _ZN2at6native12_GLOBAL__N_124searchsorted_cuda_kernelIdlEEvPT0_PKT_S7_PKllllbb.has_dyn_sized_stack, 0
	.set _ZN2at6native12_GLOBAL__N_124searchsorted_cuda_kernelIdlEEvPT0_PKT_S7_PKllllbb.has_recursion, 0
	.set _ZN2at6native12_GLOBAL__N_124searchsorted_cuda_kernelIdlEEvPT0_PKT_S7_PKllllbb.has_indirect_call, 0
	.section	.AMDGPU.csdata,"",@progbits
; Kernel info:
; codeLenInByte = 1516
; TotalNumSgprs: 44
; NumVgprs: 22
; ScratchSize: 0
; MemoryBound: 0
; FloatMode: 240
; IeeeMode: 1
; LDSByteSize: 0 bytes/workgroup (compile time only)
; SGPRBlocks: 0
; VGPRBlocks: 1
; NumSGPRsForWavesPerEU: 44
; NumVGPRsForWavesPerEU: 22
; NamedBarCnt: 0
; Occupancy: 16
; WaveLimiterHint : 0
; COMPUTE_PGM_RSRC2:SCRATCH_EN: 0
; COMPUTE_PGM_RSRC2:USER_SGPR: 2
; COMPUTE_PGM_RSRC2:TRAP_HANDLER: 0
; COMPUTE_PGM_RSRC2:TGID_X_EN: 1
; COMPUTE_PGM_RSRC2:TGID_Y_EN: 0
; COMPUTE_PGM_RSRC2:TGID_Z_EN: 0
; COMPUTE_PGM_RSRC2:TIDIG_COMP_CNT: 0
	.section	.text._ZN2at6native12_GLOBAL__N_124searchsorted_cuda_kernelIflEEvPT0_PKT_S7_PKllllbb,"axG",@progbits,_ZN2at6native12_GLOBAL__N_124searchsorted_cuda_kernelIflEEvPT0_PKT_S7_PKllllbb,comdat
	.globl	_ZN2at6native12_GLOBAL__N_124searchsorted_cuda_kernelIflEEvPT0_PKT_S7_PKllllbb ; -- Begin function _ZN2at6native12_GLOBAL__N_124searchsorted_cuda_kernelIflEEvPT0_PKT_S7_PKllllbb
	.p2align	8
	.type	_ZN2at6native12_GLOBAL__N_124searchsorted_cuda_kernelIflEEvPT0_PKT_S7_PKllllbb,@function
_ZN2at6native12_GLOBAL__N_124searchsorted_cuda_kernelIflEEvPT0_PKT_S7_PKllllbb: ; @_ZN2at6native12_GLOBAL__N_124searchsorted_cuda_kernelIflEEvPT0_PKT_S7_PKllllbb
; %bb.0:
	s_clause 0x1
	s_load_b32 s2, s[0:1], 0x4c
	s_load_b128 s[12:15], s[0:1], 0x30
	s_bfe_u32 s3, ttmp6, 0x4000c
	v_mov_b32_e32 v2, 0
	s_add_co_i32 s3, s3, 1
	s_and_b32 s4, ttmp6, 15
	s_mul_i32 s3, ttmp9, s3
	s_getreg_b32 s5, hwreg(HW_REG_IB_STS2, 6, 4)
	v_mov_b32_e32 v1, v2
	s_add_co_i32 s4, s4, s3
	s_wait_kmcnt 0x0
	s_and_b32 s2, s2, 0xffff
	s_cmp_eq_u32 s5, 0
	s_cselect_b32 s3, ttmp9, s4
	s_mov_b32 s4, exec_lo
	v_mad_nc_u64_u32 v[0:1], s2, s3, v[0:1]
	s_mov_b32 s3, 0
	s_delay_alu instid0(VALU_DEP_1)
	v_cmpx_gt_i64_e64 s[12:13], v[0:1]
	s_cbranch_execz .LBB6_28
; %bb.1:
	s_clause 0x2
	s_load_b128 s[16:19], s[0:1], 0x20
	s_load_b32 s14, s[0:1], 0x38
	s_load_b256 s[4:11], s[0:1], 0x0
	s_mov_b32 s21, s3
	s_mov_b32 s29, 0
	s_wait_kmcnt 0x0
	v_cvt_f32_u32_e32 v3, s16
	s_bitcmp1_b32 s14, 0
	v_cmp_gt_i64_e64 s28, s[18:19], 0
	s_cselect_b32 s15, -1, 0
	v_rcp_iflag_f32_e32 v3, v3
	s_xor_b32 s26, s15, -1
	s_bitcmp1_b32 s14, 8
	s_cselect_b32 s14, -1, 0
	v_cndmask_b32_e64 v18, 0, 1, s28
	s_xor_b32 s27, s14, -1
	s_delay_alu instid0(TRANS32_DEP_1)
	v_mul_f32_e32 v3, 0x4f7ffffe, v3
	s_cmp_lg_u64 s[10:11], 0
	s_add_nc_u64 s[14:15], s[0:1], 64
	s_cselect_b32 s1, -1, 0
	s_sub_co_i32 s0, 0, s16
	v_cvt_u32_f32_e32 v3, v3
	s_load_b32 s20, s[14:15], 0x0
	s_wait_xcnt 0x0
	s_mov_b64 s[14:15], 0xffffffff
	s_ashr_i32 s22, s17, 31
	v_mul_lo_u32 v4, s0, v3
	s_delay_alu instid0(VALU_DEP_1) | instskip(SKIP_2) | instid1(VALU_DEP_1)
	v_mul_hi_u32 v4, v3, v4
	s_wait_kmcnt 0x0
	s_mul_i32 s20, s20, s2
	v_add_nc_u32_e32 v19, v3, v4
	s_branch .LBB6_4
.LBB6_2:                                ;   in Loop: Header=BB6_4 Depth=1
	s_or_b32 exec_lo, exec_lo, s0
.LBB6_3:                                ;   in Loop: Header=BB6_4 Depth=1
	v_lshl_add_u64 v[6:7], v[0:1], 3, s[4:5]
	v_add_nc_u64_e32 v[0:1], s[20:21], v[0:1]
	s_delay_alu instid0(VALU_DEP_3) | instskip(NEXT) | instid1(VALU_DEP_2)
	v_sub_nc_u64_e32 v[4:5], v[8:9], v[4:5]
	v_cmp_le_i64_e32 vcc_lo, s[12:13], v[0:1]
	global_store_b64 v[6:7], v[4:5], off
	s_or_b32 s29, vcc_lo, s29
	s_wait_xcnt 0x0
	s_and_not1_b32 exec_lo, exec_lo, s29
	s_cbranch_execz .LBB6_28
.LBB6_4:                                ; =>This Loop Header: Depth=1
                                        ;     Child Loop BB6_14 Depth 2
                                        ;     Child Loop BB6_24 Depth 2
	v_mov_b64_e32 v[4:5], 0
	s_and_not1_b32 vcc_lo, exec_lo, s27
	s_cbranch_vccnz .LBB6_10
; %bb.5:                                ;   in Loop: Header=BB6_4 Depth=1
	s_wait_loadcnt 0x0
	v_or_b32_e32 v3, s17, v1
                                        ; implicit-def: $vgpr4_vgpr5
	s_mov_b32 s0, exec_lo
	s_delay_alu instid0(VALU_DEP_1)
	v_cmpx_ne_u64_e32 0, v[2:3]
	s_xor_b32 s30, exec_lo, s0
	s_cbranch_execz .LBB6_7
; %bb.6:                                ;   in Loop: Header=BB6_4 Depth=1
	s_mov_b32 s23, s22
	v_dual_mov_b32 v9, v2 :: v_dual_ashrrev_i32 v4, 31, v1
	s_add_nc_u64 s[24:25], s[16:17], s[22:23]
	s_delay_alu instid0(SALU_CYCLE_1) | instskip(NEXT) | instid1(VALU_DEP_1)
	s_xor_b64 s[24:25], s[24:25], s[22:23]
	v_mov_b32_e32 v5, v4
	s_cvt_f32_u32 s0, s24
	s_cvt_f32_u32 s2, s25
	s_sub_nc_u64 s[36:37], 0, s[24:25]
	s_delay_alu instid0(VALU_DEP_1) | instskip(NEXT) | instid1(SALU_CYCLE_1)
	v_add_nc_u64_e32 v[6:7], v[0:1], v[4:5]
	s_fmamk_f32 s0, s2, 0x4f800000, s0
	v_mov_b32_e32 v13, v2
	s_delay_alu instid0(SALU_CYCLE_2) | instskip(NEXT) | instid1(VALU_DEP_2)
	v_s_rcp_f32 s0, s0
	v_xor_b32_e32 v8, v6, v4
	s_delay_alu instid0(VALU_DEP_3) | instskip(SKIP_1) | instid1(TRANS32_DEP_1)
	v_dual_mov_b32 v17, v2 :: v_dual_bitop2_b32 v12, v7, v4 bitop3:0x14
	v_xor_b32_e32 v4, s22, v4
	s_mul_f32 s0, s0, 0x5f7ffffc
	s_delay_alu instid0(SALU_CYCLE_3) | instskip(NEXT) | instid1(SALU_CYCLE_3)
	s_mul_f32 s2, s0, 0x2f800000
	s_trunc_f32 s2, s2
	s_delay_alu instid0(SALU_CYCLE_3) | instskip(SKIP_1) | instid1(SALU_CYCLE_2)
	s_fmamk_f32 s0, s2, 0xcf800000, s0
	s_cvt_u32_f32 s35, s2
	s_cvt_u32_f32 s34, s0
	s_delay_alu instid0(SALU_CYCLE_3) | instskip(NEXT) | instid1(SALU_CYCLE_1)
	s_mul_u64 s[38:39], s[36:37], s[34:35]
	s_mul_hi_u32 s41, s34, s39
	s_mul_i32 s40, s34, s39
	s_mul_hi_u32 s2, s34, s38
	s_mul_i32 s23, s35, s38
	s_add_nc_u64 s[40:41], s[2:3], s[40:41]
	s_mul_hi_u32 s0, s35, s38
	s_mul_hi_u32 s31, s35, s39
	s_add_co_u32 s2, s40, s23
	s_add_co_ci_u32 s2, s41, s0
	s_mul_i32 s38, s35, s39
	s_add_co_ci_u32 s39, s31, 0
	s_delay_alu instid0(SALU_CYCLE_1) | instskip(NEXT) | instid1(SALU_CYCLE_1)
	s_add_nc_u64 s[38:39], s[2:3], s[38:39]
	s_add_co_u32 s34, s34, s38
	s_cselect_b32 s0, -1, 0
	s_delay_alu instid0(SALU_CYCLE_1) | instskip(SKIP_1) | instid1(SALU_CYCLE_1)
	s_cmp_lg_u32 s0, 0
	s_add_co_ci_u32 s35, s35, s39
	s_mul_u64 s[36:37], s[36:37], s[34:35]
	s_delay_alu instid0(SALU_CYCLE_1)
	s_mul_hi_u32 s39, s34, s37
	s_mul_i32 s38, s34, s37
	s_mul_hi_u32 s2, s34, s36
	s_mul_i32 s23, s35, s36
	s_add_nc_u64 s[38:39], s[2:3], s[38:39]
	s_mul_hi_u32 s0, s35, s36
	s_mul_hi_u32 s31, s35, s37
	s_add_co_u32 s2, s38, s23
	s_add_co_ci_u32 s2, s39, s0
	s_mul_i32 s36, s35, s37
	s_add_co_ci_u32 s37, s31, 0
	s_delay_alu instid0(SALU_CYCLE_1) | instskip(NEXT) | instid1(SALU_CYCLE_1)
	s_add_nc_u64 s[36:37], s[2:3], s[36:37]
	s_add_co_u32 s0, s34, s36
	s_cselect_b32 s2, -1, 0
	v_mul_hi_u32 v16, v8, s0
	s_cmp_lg_u32 s2, 0
	s_add_co_ci_u32 s2, s35, s37
	s_and_b64 s[34:35], s[0:1], s[14:15]
	v_mul_u64_e32 v[10:11], s[2:3], v[8:9]
	v_mul_u64_e32 v[6:7], s[34:35], v[12:13]
	;; [unrolled: 1-line block ×3, first 2 shown]
	s_delay_alu instid0(VALU_DEP_3) | instskip(NEXT) | instid1(VALU_DEP_1)
	v_add_nc_u64_e32 v[10:11], v[16:17], v[10:11]
	v_add_co_u32 v3, vcc_lo, v10, v6
	s_delay_alu instid0(VALU_DEP_2) | instskip(NEXT) | instid1(VALU_DEP_4)
	v_add_co_ci_u32_e32 v16, vcc_lo, v11, v7, vcc_lo
	v_add_co_ci_u32_e32 v15, vcc_lo, 0, v15, vcc_lo
	s_delay_alu instid0(VALU_DEP_1) | instskip(NEXT) | instid1(VALU_DEP_1)
	v_add_nc_u64_e32 v[6:7], v[16:17], v[14:15]
	v_mul_u64_e32 v[10:11], s[24:25], v[6:7]
	s_delay_alu instid0(VALU_DEP_1) | instskip(NEXT) | instid1(VALU_DEP_2)
	v_sub_nc_u32_e32 v3, v12, v11
	v_sub_co_u32 v5, vcc_lo, v8, v10
	s_delay_alu instid0(VALU_DEP_1) | instskip(NEXT) | instid1(VALU_DEP_3)
	v_sub_co_ci_u32_e64 v12, null, v12, v11, vcc_lo
	v_subrev_co_ci_u32_e64 v3, null, s25, v3, vcc_lo
	s_delay_alu instid0(VALU_DEP_3) | instskip(SKIP_1) | instid1(VALU_DEP_3)
	v_sub_co_u32 v8, s0, v5, s24
	v_add_nc_u64_e32 v[10:11], 1, v[6:7]
	v_subrev_co_ci_u32_e64 v3, null, 0, v3, s0
	s_delay_alu instid0(VALU_DEP_3) | instskip(SKIP_1) | instid1(VALU_DEP_3)
	v_cmp_le_u32_e32 vcc_lo, s24, v8
	v_cndmask_b32_e64 v8, 0, -1, vcc_lo
	v_cmp_le_u32_e32 vcc_lo, s25, v3
	v_cndmask_b32_e64 v9, 0, -1, vcc_lo
	;; [unrolled: 2-line block ×4, first 2 shown]
	v_cmp_eq_u32_e32 vcc_lo, s25, v3
	v_cndmask_b32_e32 v3, v9, v8, vcc_lo
	v_cmp_eq_u32_e32 vcc_lo, s25, v12
	v_add_nc_u64_e32 v[8:9], 2, v[6:7]
	v_cndmask_b32_e32 v5, v13, v5, vcc_lo
	s_delay_alu instid0(VALU_DEP_4) | instskip(NEXT) | instid1(VALU_DEP_2)
	v_cmp_ne_u32_e32 vcc_lo, 0, v3
	v_cmp_ne_u32_e64 s0, 0, v5
	s_delay_alu instid0(VALU_DEP_4) | instskip(NEXT) | instid1(VALU_DEP_1)
	v_dual_cndmask_b32 v3, v11, v9, vcc_lo :: v_dual_cndmask_b32 v5, v10, v8, vcc_lo
	v_dual_cndmask_b32 v6, v6, v5, s0 :: v_dual_mov_b32 v5, v4
	s_delay_alu instid0(VALU_DEP_1) | instskip(NEXT) | instid1(VALU_DEP_1)
	v_dual_cndmask_b32 v3, v7, v3, s0 :: v_dual_bitop2_b32 v6, v6, v4 bitop3:0x14
	v_xor_b32_e32 v7, v3, v4
	s_delay_alu instid0(VALU_DEP_1)
	v_sub_nc_u64_e32 v[4:5], v[6:7], v[4:5]
.LBB6_7:                                ;   in Loop: Header=BB6_4 Depth=1
	s_and_not1_saveexec_b32 s0, s30
	s_cbranch_execz .LBB6_9
; %bb.8:                                ;   in Loop: Header=BB6_4 Depth=1
	v_mul_hi_u32 v3, v0, v19
	s_delay_alu instid0(VALU_DEP_1) | instskip(NEXT) | instid1(VALU_DEP_1)
	v_mul_lo_u32 v4, v3, s16
	v_dual_add_nc_u32 v5, 1, v3 :: v_dual_sub_nc_u32 v4, v0, v4
	s_delay_alu instid0(VALU_DEP_1) | instskip(SKIP_1) | instid1(VALU_DEP_2)
	v_subrev_nc_u32_e32 v6, s16, v4
	v_cmp_le_u32_e32 vcc_lo, s16, v4
	v_dual_cndmask_b32 v4, v4, v6 :: v_dual_cndmask_b32 v3, v3, v5
	s_delay_alu instid0(VALU_DEP_1) | instskip(NEXT) | instid1(VALU_DEP_2)
	v_cmp_le_u32_e32 vcc_lo, s16, v4
	v_add_nc_u32_e32 v5, 1, v3
	s_delay_alu instid0(VALU_DEP_1)
	v_dual_cndmask_b32 v4, v3, v5 :: v_dual_mov_b32 v5, v2
.LBB6_9:                                ;   in Loop: Header=BB6_4 Depth=1
	s_or_b32 exec_lo, exec_lo, s0
	s_delay_alu instid0(VALU_DEP_1)
	v_mul_u64_e32 v[4:5], s[18:19], v[4:5]
.LBB6_10:                               ;   in Loop: Header=BB6_4 Depth=1
	v_lshl_add_u64 v[6:7], v[0:1], 2, s[6:7]
	v_cmp_ne_u32_e64 s0, 1, v18
	s_and_not1_b32 vcc_lo, exec_lo, s26
	s_mov_b32 s2, -1
                                        ; implicit-def: $vgpr8_vgpr9
	s_wait_loadcnt 0x0
	global_load_b32 v3, v[6:7], off
	s_wait_xcnt 0x0
	v_add_nc_u64_e32 v[6:7], s[18:19], v[4:5]
	s_cbranch_vccnz .LBB6_20
; %bb.11:                               ;   in Loop: Header=BB6_4 Depth=1
	v_mov_b64_e32 v[8:9], v[4:5]
	s_and_b32 vcc_lo, exec_lo, s0
	s_cbranch_vccnz .LBB6_19
; %bb.12:                               ;   in Loop: Header=BB6_4 Depth=1
	v_mov_b64_e32 v[8:9], v[4:5]
	s_delay_alu instid0(VALU_DEP_3)
	v_mov_b64_e32 v[12:13], v[6:7]
	v_lshl_add_u64 v[10:11], v[4:5], 2, s[8:9]
	s_mov_b32 s0, 0
	s_branch .LBB6_14
.LBB6_13:                               ;   in Loop: Header=BB6_14 Depth=2
	global_load_b32 v20, v[16:17], off
	s_wait_xcnt 0x0
	v_add_nc_u64_e32 v[16:17], 1, v[14:15]
	s_wait_loadcnt 0x0
	v_cmp_nge_f32_e32 vcc_lo, v20, v3
	v_dual_cndmask_b32 v13, v15, v13 :: v_dual_cndmask_b32 v12, v14, v12
	s_delay_alu instid0(VALU_DEP_3) | instskip(NEXT) | instid1(VALU_DEP_1)
	v_dual_cndmask_b32 v9, v9, v17 :: v_dual_cndmask_b32 v8, v8, v16
	v_cmp_ge_i64_e32 vcc_lo, v[8:9], v[12:13]
	s_or_b32 s0, vcc_lo, s0
	s_delay_alu instid0(SALU_CYCLE_1)
	s_and_not1_b32 exec_lo, exec_lo, s0
	s_cbranch_execz .LBB6_18
.LBB6_14:                               ;   Parent Loop BB6_4 Depth=1
                                        ; =>  This Inner Loop Header: Depth=2
	s_delay_alu instid0(VALU_DEP_2) | instskip(SKIP_1) | instid1(VALU_DEP_1)
	v_sub_nc_u64_e32 v[14:15], v[12:13], v[8:9]
	s_and_not1_b32 vcc_lo, exec_lo, s1
	v_lshrrev_b64 v[14:15], 1, v[14:15]
	s_delay_alu instid0(VALU_DEP_1)
	v_add_nc_u64_e32 v[14:15], v[14:15], v[8:9]
	s_cbranch_vccnz .LBB6_16
; %bb.15:                               ;   in Loop: Header=BB6_14 Depth=2
	s_delay_alu instid0(VALU_DEP_1)
	v_lshl_add_u64 v[16:17], v[14:15], 3, s[10:11]
	global_load_b64 v[16:17], v[16:17], off
	s_wait_loadcnt 0x0
	s_wait_xcnt 0x0
	v_lshl_add_u64 v[16:17], v[16:17], 2, v[10:11]
	s_cbranch_execnz .LBB6_13
	s_branch .LBB6_17
.LBB6_16:                               ;   in Loop: Header=BB6_14 Depth=2
                                        ; implicit-def: $vgpr16_vgpr17
.LBB6_17:                               ;   in Loop: Header=BB6_14 Depth=2
	s_delay_alu instid0(VALU_DEP_1)
	v_lshl_add_u64 v[16:17], v[14:15], 2, s[8:9]
	s_branch .LBB6_13
.LBB6_18:                               ;   in Loop: Header=BB6_4 Depth=1
	s_or_b32 exec_lo, exec_lo, s0
.LBB6_19:                               ;   in Loop: Header=BB6_4 Depth=1
	s_mov_b32 s2, 0
.LBB6_20:                               ;   in Loop: Header=BB6_4 Depth=1
	s_delay_alu instid0(SALU_CYCLE_1)
	s_and_not1_b32 vcc_lo, exec_lo, s2
	s_cbranch_vccnz .LBB6_3
; %bb.21:                               ;   in Loop: Header=BB6_4 Depth=1
	v_mov_b64_e32 v[8:9], v[4:5]
	s_and_not1_b32 vcc_lo, exec_lo, s28
	s_cbranch_vccnz .LBB6_3
; %bb.22:                               ;   in Loop: Header=BB6_4 Depth=1
	v_mov_b64_e32 v[8:9], v[4:5]
	v_lshl_add_u64 v[10:11], v[4:5], 2, s[8:9]
	s_mov_b32 s0, 0
	s_branch .LBB6_24
.LBB6_23:                               ;   in Loop: Header=BB6_24 Depth=2
	global_load_b32 v16, v[14:15], off
	s_wait_xcnt 0x0
	v_add_nc_u64_e32 v[14:15], 1, v[12:13]
	s_wait_loadcnt 0x0
	v_cmp_gt_f32_e32 vcc_lo, v16, v3
	v_dual_cndmask_b32 v7, v7, v13 :: v_dual_cndmask_b32 v6, v6, v12
	s_delay_alu instid0(VALU_DEP_3) | instskip(NEXT) | instid1(VALU_DEP_1)
	v_dual_cndmask_b32 v9, v15, v9 :: v_dual_cndmask_b32 v8, v14, v8
	v_cmp_ge_i64_e32 vcc_lo, v[8:9], v[6:7]
	s_or_b32 s0, vcc_lo, s0
	s_delay_alu instid0(SALU_CYCLE_1)
	s_and_not1_b32 exec_lo, exec_lo, s0
	s_cbranch_execz .LBB6_2
.LBB6_24:                               ;   Parent Loop BB6_4 Depth=1
                                        ; =>  This Inner Loop Header: Depth=2
	s_delay_alu instid0(VALU_DEP_2) | instskip(SKIP_1) | instid1(VALU_DEP_1)
	v_sub_nc_u64_e32 v[12:13], v[6:7], v[8:9]
	s_and_not1_b32 vcc_lo, exec_lo, s1
	v_lshrrev_b64 v[12:13], 1, v[12:13]
	s_delay_alu instid0(VALU_DEP_1)
	v_add_nc_u64_e32 v[12:13], v[12:13], v[8:9]
	s_cbranch_vccnz .LBB6_26
; %bb.25:                               ;   in Loop: Header=BB6_24 Depth=2
	s_delay_alu instid0(VALU_DEP_1)
	v_lshl_add_u64 v[14:15], v[12:13], 3, s[10:11]
	global_load_b64 v[14:15], v[14:15], off
	s_wait_loadcnt 0x0
	s_wait_xcnt 0x0
	v_lshl_add_u64 v[14:15], v[14:15], 2, v[10:11]
	s_cbranch_execnz .LBB6_23
	s_branch .LBB6_27
.LBB6_26:                               ;   in Loop: Header=BB6_24 Depth=2
                                        ; implicit-def: $vgpr14_vgpr15
.LBB6_27:                               ;   in Loop: Header=BB6_24 Depth=2
	s_delay_alu instid0(VALU_DEP_1)
	v_lshl_add_u64 v[14:15], v[12:13], 2, s[8:9]
	s_branch .LBB6_23
.LBB6_28:
	s_endpgm
	.section	.rodata,"a",@progbits
	.p2align	6, 0x0
	.amdhsa_kernel _ZN2at6native12_GLOBAL__N_124searchsorted_cuda_kernelIflEEvPT0_PKT_S7_PKllllbb
		.amdhsa_group_segment_fixed_size 0
		.amdhsa_private_segment_fixed_size 0
		.amdhsa_kernarg_size 320
		.amdhsa_user_sgpr_count 2
		.amdhsa_user_sgpr_dispatch_ptr 0
		.amdhsa_user_sgpr_queue_ptr 0
		.amdhsa_user_sgpr_kernarg_segment_ptr 1
		.amdhsa_user_sgpr_dispatch_id 0
		.amdhsa_user_sgpr_kernarg_preload_length 0
		.amdhsa_user_sgpr_kernarg_preload_offset 0
		.amdhsa_user_sgpr_private_segment_size 0
		.amdhsa_wavefront_size32 1
		.amdhsa_uses_dynamic_stack 0
		.amdhsa_enable_private_segment 0
		.amdhsa_system_sgpr_workgroup_id_x 1
		.amdhsa_system_sgpr_workgroup_id_y 0
		.amdhsa_system_sgpr_workgroup_id_z 0
		.amdhsa_system_sgpr_workgroup_info 0
		.amdhsa_system_vgpr_workitem_id 0
		.amdhsa_next_free_vgpr 21
		.amdhsa_next_free_sgpr 42
		.amdhsa_named_barrier_count 0
		.amdhsa_reserve_vcc 1
		.amdhsa_float_round_mode_32 0
		.amdhsa_float_round_mode_16_64 0
		.amdhsa_float_denorm_mode_32 3
		.amdhsa_float_denorm_mode_16_64 3
		.amdhsa_fp16_overflow 0
		.amdhsa_memory_ordered 1
		.amdhsa_forward_progress 1
		.amdhsa_inst_pref_size 12
		.amdhsa_round_robin_scheduling 0
		.amdhsa_exception_fp_ieee_invalid_op 0
		.amdhsa_exception_fp_denorm_src 0
		.amdhsa_exception_fp_ieee_div_zero 0
		.amdhsa_exception_fp_ieee_overflow 0
		.amdhsa_exception_fp_ieee_underflow 0
		.amdhsa_exception_fp_ieee_inexact 0
		.amdhsa_exception_int_div_zero 0
	.end_amdhsa_kernel
	.section	.text._ZN2at6native12_GLOBAL__N_124searchsorted_cuda_kernelIflEEvPT0_PKT_S7_PKllllbb,"axG",@progbits,_ZN2at6native12_GLOBAL__N_124searchsorted_cuda_kernelIflEEvPT0_PKT_S7_PKllllbb,comdat
.Lfunc_end6:
	.size	_ZN2at6native12_GLOBAL__N_124searchsorted_cuda_kernelIflEEvPT0_PKT_S7_PKllllbb, .Lfunc_end6-_ZN2at6native12_GLOBAL__N_124searchsorted_cuda_kernelIflEEvPT0_PKT_S7_PKllllbb
                                        ; -- End function
	.set _ZN2at6native12_GLOBAL__N_124searchsorted_cuda_kernelIflEEvPT0_PKT_S7_PKllllbb.num_vgpr, 21
	.set _ZN2at6native12_GLOBAL__N_124searchsorted_cuda_kernelIflEEvPT0_PKT_S7_PKllllbb.num_agpr, 0
	.set _ZN2at6native12_GLOBAL__N_124searchsorted_cuda_kernelIflEEvPT0_PKT_S7_PKllllbb.numbered_sgpr, 42
	.set _ZN2at6native12_GLOBAL__N_124searchsorted_cuda_kernelIflEEvPT0_PKT_S7_PKllllbb.num_named_barrier, 0
	.set _ZN2at6native12_GLOBAL__N_124searchsorted_cuda_kernelIflEEvPT0_PKT_S7_PKllllbb.private_seg_size, 0
	.set _ZN2at6native12_GLOBAL__N_124searchsorted_cuda_kernelIflEEvPT0_PKT_S7_PKllllbb.uses_vcc, 1
	.set _ZN2at6native12_GLOBAL__N_124searchsorted_cuda_kernelIflEEvPT0_PKT_S7_PKllllbb.uses_flat_scratch, 0
	.set _ZN2at6native12_GLOBAL__N_124searchsorted_cuda_kernelIflEEvPT0_PKT_S7_PKllllbb.has_dyn_sized_stack, 0
	.set _ZN2at6native12_GLOBAL__N_124searchsorted_cuda_kernelIflEEvPT0_PKT_S7_PKllllbb.has_recursion, 0
	.set _ZN2at6native12_GLOBAL__N_124searchsorted_cuda_kernelIflEEvPT0_PKT_S7_PKllllbb.has_indirect_call, 0
	.section	.AMDGPU.csdata,"",@progbits
; Kernel info:
; codeLenInByte = 1520
; TotalNumSgprs: 44
; NumVgprs: 21
; ScratchSize: 0
; MemoryBound: 0
; FloatMode: 240
; IeeeMode: 1
; LDSByteSize: 0 bytes/workgroup (compile time only)
; SGPRBlocks: 0
; VGPRBlocks: 1
; NumSGPRsForWavesPerEU: 44
; NumVGPRsForWavesPerEU: 21
; NamedBarCnt: 0
; Occupancy: 16
; WaveLimiterHint : 0
; COMPUTE_PGM_RSRC2:SCRATCH_EN: 0
; COMPUTE_PGM_RSRC2:USER_SGPR: 2
; COMPUTE_PGM_RSRC2:TRAP_HANDLER: 0
; COMPUTE_PGM_RSRC2:TGID_X_EN: 1
; COMPUTE_PGM_RSRC2:TGID_Y_EN: 0
; COMPUTE_PGM_RSRC2:TGID_Z_EN: 0
; COMPUTE_PGM_RSRC2:TIDIG_COMP_CNT: 0
	.section	.text._ZN2at6native12_GLOBAL__N_124searchsorted_cuda_kernelIN3c104HalfElEEvPT0_PKT_S9_PKllllbb,"axG",@progbits,_ZN2at6native12_GLOBAL__N_124searchsorted_cuda_kernelIN3c104HalfElEEvPT0_PKT_S9_PKllllbb,comdat
	.globl	_ZN2at6native12_GLOBAL__N_124searchsorted_cuda_kernelIN3c104HalfElEEvPT0_PKT_S9_PKllllbb ; -- Begin function _ZN2at6native12_GLOBAL__N_124searchsorted_cuda_kernelIN3c104HalfElEEvPT0_PKT_S9_PKllllbb
	.p2align	8
	.type	_ZN2at6native12_GLOBAL__N_124searchsorted_cuda_kernelIN3c104HalfElEEvPT0_PKT_S9_PKllllbb,@function
_ZN2at6native12_GLOBAL__N_124searchsorted_cuda_kernelIN3c104HalfElEEvPT0_PKT_S9_PKllllbb: ; @_ZN2at6native12_GLOBAL__N_124searchsorted_cuda_kernelIN3c104HalfElEEvPT0_PKT_S9_PKllllbb
; %bb.0:
	s_clause 0x1
	s_load_b32 s2, s[0:1], 0x4c
	s_load_b128 s[12:15], s[0:1], 0x30
	s_bfe_u32 s3, ttmp6, 0x4000c
	v_mov_b32_e32 v2, 0
	s_add_co_i32 s3, s3, 1
	s_and_b32 s4, ttmp6, 15
	s_mul_i32 s3, ttmp9, s3
	s_getreg_b32 s5, hwreg(HW_REG_IB_STS2, 6, 4)
	v_mov_b32_e32 v1, v2
	s_add_co_i32 s4, s4, s3
	s_wait_kmcnt 0x0
	s_and_b32 s2, s2, 0xffff
	s_cmp_eq_u32 s5, 0
	s_cselect_b32 s3, ttmp9, s4
	s_mov_b32 s4, exec_lo
	v_mad_nc_u64_u32 v[0:1], s2, s3, v[0:1]
	s_mov_b32 s3, 0
	s_delay_alu instid0(VALU_DEP_1)
	v_cmpx_gt_i64_e64 s[12:13], v[0:1]
	s_cbranch_execz .LBB7_28
; %bb.1:
	s_clause 0x2
	s_load_b128 s[16:19], s[0:1], 0x20
	s_load_b32 s14, s[0:1], 0x38
	s_load_b256 s[4:11], s[0:1], 0x0
	s_mov_b32 s21, s3
	s_mov_b32 s29, 0
	s_wait_kmcnt 0x0
	v_cvt_f32_u32_e32 v3, s16
	s_bitcmp1_b32 s14, 0
	v_cmp_gt_i64_e64 s28, s[18:19], 0
	s_cselect_b32 s15, -1, 0
	v_rcp_iflag_f32_e32 v3, v3
	s_xor_b32 s26, s15, -1
	s_bitcmp1_b32 s14, 8
	s_cselect_b32 s14, -1, 0
	v_cndmask_b32_e64 v18, 0, 1, s28
	s_xor_b32 s27, s14, -1
	s_delay_alu instid0(TRANS32_DEP_1)
	v_mul_f32_e32 v3, 0x4f7ffffe, v3
	s_cmp_lg_u64 s[10:11], 0
	s_add_nc_u64 s[14:15], s[0:1], 64
	s_cselect_b32 s1, -1, 0
	s_sub_co_i32 s0, 0, s16
	v_cvt_u32_f32_e32 v3, v3
	s_load_b32 s20, s[14:15], 0x0
	s_wait_xcnt 0x0
	s_mov_b64 s[14:15], 0xffffffff
	s_ashr_i32 s22, s17, 31
	v_mul_lo_u32 v4, s0, v3
	s_delay_alu instid0(VALU_DEP_1) | instskip(SKIP_2) | instid1(VALU_DEP_1)
	v_mul_hi_u32 v4, v3, v4
	s_wait_kmcnt 0x0
	s_mul_i32 s20, s20, s2
	v_add_nc_u32_e32 v19, v3, v4
	s_branch .LBB7_4
.LBB7_2:                                ;   in Loop: Header=BB7_4 Depth=1
	s_or_b32 exec_lo, exec_lo, s0
.LBB7_3:                                ;   in Loop: Header=BB7_4 Depth=1
	v_lshl_add_u64 v[6:7], v[0:1], 3, s[4:5]
	v_add_nc_u64_e32 v[0:1], s[20:21], v[0:1]
	s_delay_alu instid0(VALU_DEP_3) | instskip(NEXT) | instid1(VALU_DEP_2)
	v_sub_nc_u64_e32 v[4:5], v[8:9], v[4:5]
	v_cmp_le_i64_e32 vcc_lo, s[12:13], v[0:1]
	global_store_b64 v[6:7], v[4:5], off
	s_or_b32 s29, vcc_lo, s29
	s_wait_xcnt 0x0
	s_and_not1_b32 exec_lo, exec_lo, s29
	s_cbranch_execz .LBB7_28
.LBB7_4:                                ; =>This Loop Header: Depth=1
                                        ;     Child Loop BB7_14 Depth 2
                                        ;     Child Loop BB7_24 Depth 2
	v_mov_b64_e32 v[4:5], 0
	s_and_not1_b32 vcc_lo, exec_lo, s27
	s_cbranch_vccnz .LBB7_10
; %bb.5:                                ;   in Loop: Header=BB7_4 Depth=1
	v_or_b32_e32 v3, s17, v1
                                        ; implicit-def: $vgpr4_vgpr5
	s_mov_b32 s0, exec_lo
	s_delay_alu instid0(VALU_DEP_1)
	v_cmpx_ne_u64_e32 0, v[2:3]
	s_xor_b32 s30, exec_lo, s0
	s_cbranch_execz .LBB7_7
; %bb.6:                                ;   in Loop: Header=BB7_4 Depth=1
	s_mov_b32 s23, s22
	v_dual_mov_b32 v9, v2 :: v_dual_ashrrev_i32 v4, 31, v1
	s_add_nc_u64 s[24:25], s[16:17], s[22:23]
	s_delay_alu instid0(SALU_CYCLE_1) | instskip(NEXT) | instid1(VALU_DEP_1)
	s_xor_b64 s[24:25], s[24:25], s[22:23]
	v_mov_b32_e32 v5, v4
	s_cvt_f32_u32 s0, s24
	s_cvt_f32_u32 s2, s25
	s_sub_nc_u64 s[36:37], 0, s[24:25]
	s_delay_alu instid0(VALU_DEP_1) | instskip(NEXT) | instid1(SALU_CYCLE_1)
	v_add_nc_u64_e32 v[6:7], v[0:1], v[4:5]
	s_fmamk_f32 s0, s2, 0x4f800000, s0
	v_mov_b32_e32 v13, v2
	s_delay_alu instid0(SALU_CYCLE_2) | instskip(NEXT) | instid1(VALU_DEP_2)
	v_s_rcp_f32 s0, s0
	v_xor_b32_e32 v8, v6, v4
	s_delay_alu instid0(VALU_DEP_3) | instskip(SKIP_1) | instid1(TRANS32_DEP_1)
	v_dual_mov_b32 v17, v2 :: v_dual_bitop2_b32 v12, v7, v4 bitop3:0x14
	v_xor_b32_e32 v4, s22, v4
	s_mul_f32 s0, s0, 0x5f7ffffc
	s_delay_alu instid0(SALU_CYCLE_3) | instskip(NEXT) | instid1(SALU_CYCLE_3)
	s_mul_f32 s2, s0, 0x2f800000
	s_trunc_f32 s2, s2
	s_delay_alu instid0(SALU_CYCLE_3) | instskip(SKIP_1) | instid1(SALU_CYCLE_2)
	s_fmamk_f32 s0, s2, 0xcf800000, s0
	s_cvt_u32_f32 s35, s2
	s_cvt_u32_f32 s34, s0
	s_delay_alu instid0(SALU_CYCLE_3) | instskip(NEXT) | instid1(SALU_CYCLE_1)
	s_mul_u64 s[38:39], s[36:37], s[34:35]
	s_mul_hi_u32 s41, s34, s39
	s_mul_i32 s40, s34, s39
	s_mul_hi_u32 s2, s34, s38
	s_mul_i32 s23, s35, s38
	s_add_nc_u64 s[40:41], s[2:3], s[40:41]
	s_mul_hi_u32 s0, s35, s38
	s_mul_hi_u32 s31, s35, s39
	s_add_co_u32 s2, s40, s23
	s_add_co_ci_u32 s2, s41, s0
	s_mul_i32 s38, s35, s39
	s_add_co_ci_u32 s39, s31, 0
	s_delay_alu instid0(SALU_CYCLE_1) | instskip(NEXT) | instid1(SALU_CYCLE_1)
	s_add_nc_u64 s[38:39], s[2:3], s[38:39]
	s_add_co_u32 s34, s34, s38
	s_cselect_b32 s0, -1, 0
	s_delay_alu instid0(SALU_CYCLE_1) | instskip(SKIP_1) | instid1(SALU_CYCLE_1)
	s_cmp_lg_u32 s0, 0
	s_add_co_ci_u32 s35, s35, s39
	s_mul_u64 s[36:37], s[36:37], s[34:35]
	s_delay_alu instid0(SALU_CYCLE_1)
	s_mul_hi_u32 s39, s34, s37
	s_mul_i32 s38, s34, s37
	s_mul_hi_u32 s2, s34, s36
	s_mul_i32 s23, s35, s36
	s_add_nc_u64 s[38:39], s[2:3], s[38:39]
	s_mul_hi_u32 s0, s35, s36
	s_mul_hi_u32 s31, s35, s37
	s_add_co_u32 s2, s38, s23
	s_add_co_ci_u32 s2, s39, s0
	s_mul_i32 s36, s35, s37
	s_add_co_ci_u32 s37, s31, 0
	s_delay_alu instid0(SALU_CYCLE_1) | instskip(NEXT) | instid1(SALU_CYCLE_1)
	s_add_nc_u64 s[36:37], s[2:3], s[36:37]
	s_add_co_u32 s0, s34, s36
	s_cselect_b32 s2, -1, 0
	v_mul_hi_u32 v16, v8, s0
	s_cmp_lg_u32 s2, 0
	s_add_co_ci_u32 s2, s35, s37
	s_and_b64 s[34:35], s[0:1], s[14:15]
	v_mul_u64_e32 v[10:11], s[2:3], v[8:9]
	v_mul_u64_e32 v[6:7], s[34:35], v[12:13]
	;; [unrolled: 1-line block ×3, first 2 shown]
	s_delay_alu instid0(VALU_DEP_3) | instskip(NEXT) | instid1(VALU_DEP_1)
	v_add_nc_u64_e32 v[10:11], v[16:17], v[10:11]
	v_add_co_u32 v3, vcc_lo, v10, v6
	s_delay_alu instid0(VALU_DEP_2) | instskip(NEXT) | instid1(VALU_DEP_4)
	v_add_co_ci_u32_e32 v16, vcc_lo, v11, v7, vcc_lo
	v_add_co_ci_u32_e32 v15, vcc_lo, 0, v15, vcc_lo
	s_delay_alu instid0(VALU_DEP_1) | instskip(NEXT) | instid1(VALU_DEP_1)
	v_add_nc_u64_e32 v[6:7], v[16:17], v[14:15]
	v_mul_u64_e32 v[10:11], s[24:25], v[6:7]
	s_delay_alu instid0(VALU_DEP_1) | instskip(NEXT) | instid1(VALU_DEP_2)
	v_sub_nc_u32_e32 v3, v12, v11
	v_sub_co_u32 v5, vcc_lo, v8, v10
	s_delay_alu instid0(VALU_DEP_1) | instskip(NEXT) | instid1(VALU_DEP_3)
	v_sub_co_ci_u32_e64 v12, null, v12, v11, vcc_lo
	v_subrev_co_ci_u32_e64 v3, null, s25, v3, vcc_lo
	s_delay_alu instid0(VALU_DEP_3) | instskip(SKIP_1) | instid1(VALU_DEP_3)
	v_sub_co_u32 v8, s0, v5, s24
	v_add_nc_u64_e32 v[10:11], 1, v[6:7]
	v_subrev_co_ci_u32_e64 v3, null, 0, v3, s0
	s_delay_alu instid0(VALU_DEP_3) | instskip(SKIP_1) | instid1(VALU_DEP_3)
	v_cmp_le_u32_e32 vcc_lo, s24, v8
	v_cndmask_b32_e64 v8, 0, -1, vcc_lo
	v_cmp_le_u32_e32 vcc_lo, s25, v3
	v_cndmask_b32_e64 v9, 0, -1, vcc_lo
	;; [unrolled: 2-line block ×4, first 2 shown]
	v_cmp_eq_u32_e32 vcc_lo, s25, v3
	v_cndmask_b32_e32 v3, v9, v8, vcc_lo
	v_cmp_eq_u32_e32 vcc_lo, s25, v12
	v_add_nc_u64_e32 v[8:9], 2, v[6:7]
	v_cndmask_b32_e32 v5, v13, v5, vcc_lo
	s_delay_alu instid0(VALU_DEP_4) | instskip(NEXT) | instid1(VALU_DEP_2)
	v_cmp_ne_u32_e32 vcc_lo, 0, v3
	v_cmp_ne_u32_e64 s0, 0, v5
	s_delay_alu instid0(VALU_DEP_4) | instskip(NEXT) | instid1(VALU_DEP_1)
	v_dual_cndmask_b32 v3, v11, v9, vcc_lo :: v_dual_cndmask_b32 v5, v10, v8, vcc_lo
	v_dual_cndmask_b32 v6, v6, v5, s0 :: v_dual_mov_b32 v5, v4
	s_delay_alu instid0(VALU_DEP_1) | instskip(NEXT) | instid1(VALU_DEP_1)
	v_dual_cndmask_b32 v3, v7, v3, s0 :: v_dual_bitop2_b32 v6, v6, v4 bitop3:0x14
	v_xor_b32_e32 v7, v3, v4
	s_delay_alu instid0(VALU_DEP_1)
	v_sub_nc_u64_e32 v[4:5], v[6:7], v[4:5]
.LBB7_7:                                ;   in Loop: Header=BB7_4 Depth=1
	s_and_not1_saveexec_b32 s0, s30
	s_cbranch_execz .LBB7_9
; %bb.8:                                ;   in Loop: Header=BB7_4 Depth=1
	v_mul_hi_u32 v3, v0, v19
	s_delay_alu instid0(VALU_DEP_1) | instskip(NEXT) | instid1(VALU_DEP_1)
	v_mul_lo_u32 v4, v3, s16
	v_dual_add_nc_u32 v5, 1, v3 :: v_dual_sub_nc_u32 v4, v0, v4
	s_delay_alu instid0(VALU_DEP_1) | instskip(SKIP_1) | instid1(VALU_DEP_2)
	v_subrev_nc_u32_e32 v6, s16, v4
	v_cmp_le_u32_e32 vcc_lo, s16, v4
	v_dual_cndmask_b32 v4, v4, v6 :: v_dual_cndmask_b32 v3, v3, v5
	s_delay_alu instid0(VALU_DEP_1) | instskip(NEXT) | instid1(VALU_DEP_2)
	v_cmp_le_u32_e32 vcc_lo, s16, v4
	v_add_nc_u32_e32 v5, 1, v3
	s_delay_alu instid0(VALU_DEP_1)
	v_dual_cndmask_b32 v4, v3, v5 :: v_dual_mov_b32 v5, v2
.LBB7_9:                                ;   in Loop: Header=BB7_4 Depth=1
	s_or_b32 exec_lo, exec_lo, s0
	s_delay_alu instid0(VALU_DEP_1)
	v_mul_u64_e32 v[4:5], s[18:19], v[4:5]
.LBB7_10:                               ;   in Loop: Header=BB7_4 Depth=1
	s_delay_alu instid0(VALU_DEP_1)
	v_add_nc_u64_e32 v[6:7], s[18:19], v[4:5]
	v_cmp_ne_u32_e64 s0, 1, v18
	s_and_not1_b32 vcc_lo, exec_lo, s26
	s_mov_b32 s2, -1
                                        ; implicit-def: $vgpr8_vgpr9
	s_cbranch_vccnz .LBB7_20
; %bb.11:                               ;   in Loop: Header=BB7_4 Depth=1
	v_mov_b64_e32 v[8:9], v[4:5]
	s_and_b32 vcc_lo, exec_lo, s0
	s_cbranch_vccnz .LBB7_19
; %bb.12:                               ;   in Loop: Header=BB7_4 Depth=1
	v_lshl_add_u64 v[8:9], v[0:1], 1, s[6:7]
	v_mov_b64_e32 v[12:13], v[6:7]
	v_lshl_add_u64 v[10:11], v[4:5], 1, s[8:9]
	s_mov_b32 s0, 0
	global_load_u16 v3, v[8:9], off
	s_wait_xcnt 0x0
	v_mov_b64_e32 v[8:9], v[4:5]
	s_branch .LBB7_14
.LBB7_13:                               ;   in Loop: Header=BB7_14 Depth=2
	global_load_u16 v20, v[16:17], off
	s_wait_xcnt 0x0
	v_add_nc_u64_e32 v[16:17], 1, v[14:15]
	s_wait_loadcnt 0x0
	v_cmp_nge_f16_e32 vcc_lo, v20, v3
	v_dual_cndmask_b32 v13, v15, v13 :: v_dual_cndmask_b32 v12, v14, v12
	s_delay_alu instid0(VALU_DEP_3) | instskip(NEXT) | instid1(VALU_DEP_1)
	v_dual_cndmask_b32 v9, v9, v17 :: v_dual_cndmask_b32 v8, v8, v16
	v_cmp_ge_i64_e32 vcc_lo, v[8:9], v[12:13]
	s_or_b32 s0, vcc_lo, s0
	s_delay_alu instid0(SALU_CYCLE_1)
	s_and_not1_b32 exec_lo, exec_lo, s0
	s_cbranch_execz .LBB7_18
.LBB7_14:                               ;   Parent Loop BB7_4 Depth=1
                                        ; =>  This Inner Loop Header: Depth=2
	s_delay_alu instid0(VALU_DEP_1) | instskip(SKIP_1) | instid1(VALU_DEP_1)
	v_sub_nc_u64_e32 v[14:15], v[12:13], v[8:9]
	s_and_not1_b32 vcc_lo, exec_lo, s1
	v_lshrrev_b64 v[14:15], 1, v[14:15]
	s_delay_alu instid0(VALU_DEP_1)
	v_add_nc_u64_e32 v[14:15], v[14:15], v[8:9]
	s_cbranch_vccnz .LBB7_16
; %bb.15:                               ;   in Loop: Header=BB7_14 Depth=2
	s_delay_alu instid0(VALU_DEP_1)
	v_lshl_add_u64 v[16:17], v[14:15], 3, s[10:11]
	global_load_b64 v[16:17], v[16:17], off
	s_wait_loadcnt 0x0
	s_wait_xcnt 0x0
	v_lshl_add_u64 v[16:17], v[16:17], 1, v[10:11]
	s_cbranch_execnz .LBB7_13
	s_branch .LBB7_17
.LBB7_16:                               ;   in Loop: Header=BB7_14 Depth=2
                                        ; implicit-def: $vgpr16_vgpr17
.LBB7_17:                               ;   in Loop: Header=BB7_14 Depth=2
	s_delay_alu instid0(VALU_DEP_1)
	v_lshl_add_u64 v[16:17], v[14:15], 1, s[8:9]
	s_branch .LBB7_13
.LBB7_18:                               ;   in Loop: Header=BB7_4 Depth=1
	s_or_b32 exec_lo, exec_lo, s0
.LBB7_19:                               ;   in Loop: Header=BB7_4 Depth=1
	s_mov_b32 s2, 0
.LBB7_20:                               ;   in Loop: Header=BB7_4 Depth=1
	s_delay_alu instid0(SALU_CYCLE_1)
	s_and_not1_b32 vcc_lo, exec_lo, s2
	s_cbranch_vccnz .LBB7_3
; %bb.21:                               ;   in Loop: Header=BB7_4 Depth=1
	v_mov_b64_e32 v[8:9], v[4:5]
	s_and_not1_b32 vcc_lo, exec_lo, s28
	s_cbranch_vccnz .LBB7_3
; %bb.22:                               ;   in Loop: Header=BB7_4 Depth=1
	v_lshl_add_u64 v[8:9], v[0:1], 1, s[6:7]
	v_lshl_add_u64 v[10:11], v[4:5], 1, s[8:9]
	s_mov_b32 s0, 0
	global_load_u16 v3, v[8:9], off
	s_wait_xcnt 0x0
	v_mov_b64_e32 v[8:9], v[4:5]
	s_branch .LBB7_24
.LBB7_23:                               ;   in Loop: Header=BB7_24 Depth=2
	global_load_u16 v16, v[14:15], off
	s_wait_xcnt 0x0
	v_add_nc_u64_e32 v[14:15], 1, v[12:13]
	s_wait_loadcnt 0x0
	v_cmp_gt_f16_e32 vcc_lo, v16, v3
	v_dual_cndmask_b32 v7, v7, v13 :: v_dual_cndmask_b32 v6, v6, v12
	s_delay_alu instid0(VALU_DEP_3) | instskip(NEXT) | instid1(VALU_DEP_1)
	v_dual_cndmask_b32 v9, v15, v9 :: v_dual_cndmask_b32 v8, v14, v8
	v_cmp_ge_i64_e32 vcc_lo, v[8:9], v[6:7]
	s_or_b32 s0, vcc_lo, s0
	s_delay_alu instid0(SALU_CYCLE_1)
	s_and_not1_b32 exec_lo, exec_lo, s0
	s_cbranch_execz .LBB7_2
.LBB7_24:                               ;   Parent Loop BB7_4 Depth=1
                                        ; =>  This Inner Loop Header: Depth=2
	s_delay_alu instid0(VALU_DEP_1) | instskip(SKIP_1) | instid1(VALU_DEP_1)
	v_sub_nc_u64_e32 v[12:13], v[6:7], v[8:9]
	s_and_not1_b32 vcc_lo, exec_lo, s1
	v_lshrrev_b64 v[12:13], 1, v[12:13]
	s_delay_alu instid0(VALU_DEP_1)
	v_add_nc_u64_e32 v[12:13], v[12:13], v[8:9]
	s_cbranch_vccnz .LBB7_26
; %bb.25:                               ;   in Loop: Header=BB7_24 Depth=2
	s_delay_alu instid0(VALU_DEP_1)
	v_lshl_add_u64 v[14:15], v[12:13], 3, s[10:11]
	global_load_b64 v[14:15], v[14:15], off
	s_wait_loadcnt 0x0
	s_wait_xcnt 0x0
	v_lshl_add_u64 v[14:15], v[14:15], 1, v[10:11]
	s_cbranch_execnz .LBB7_23
	s_branch .LBB7_27
.LBB7_26:                               ;   in Loop: Header=BB7_24 Depth=2
                                        ; implicit-def: $vgpr14_vgpr15
.LBB7_27:                               ;   in Loop: Header=BB7_24 Depth=2
	s_delay_alu instid0(VALU_DEP_1)
	v_lshl_add_u64 v[14:15], v[12:13], 1, s[8:9]
	s_branch .LBB7_23
.LBB7_28:
	s_endpgm
	.section	.rodata,"a",@progbits
	.p2align	6, 0x0
	.amdhsa_kernel _ZN2at6native12_GLOBAL__N_124searchsorted_cuda_kernelIN3c104HalfElEEvPT0_PKT_S9_PKllllbb
		.amdhsa_group_segment_fixed_size 0
		.amdhsa_private_segment_fixed_size 0
		.amdhsa_kernarg_size 320
		.amdhsa_user_sgpr_count 2
		.amdhsa_user_sgpr_dispatch_ptr 0
		.amdhsa_user_sgpr_queue_ptr 0
		.amdhsa_user_sgpr_kernarg_segment_ptr 1
		.amdhsa_user_sgpr_dispatch_id 0
		.amdhsa_user_sgpr_kernarg_preload_length 0
		.amdhsa_user_sgpr_kernarg_preload_offset 0
		.amdhsa_user_sgpr_private_segment_size 0
		.amdhsa_wavefront_size32 1
		.amdhsa_uses_dynamic_stack 0
		.amdhsa_enable_private_segment 0
		.amdhsa_system_sgpr_workgroup_id_x 1
		.amdhsa_system_sgpr_workgroup_id_y 0
		.amdhsa_system_sgpr_workgroup_id_z 0
		.amdhsa_system_sgpr_workgroup_info 0
		.amdhsa_system_vgpr_workitem_id 0
		.amdhsa_next_free_vgpr 21
		.amdhsa_next_free_sgpr 42
		.amdhsa_named_barrier_count 0
		.amdhsa_reserve_vcc 1
		.amdhsa_float_round_mode_32 0
		.amdhsa_float_round_mode_16_64 0
		.amdhsa_float_denorm_mode_32 3
		.amdhsa_float_denorm_mode_16_64 3
		.amdhsa_fp16_overflow 0
		.amdhsa_memory_ordered 1
		.amdhsa_forward_progress 1
		.amdhsa_inst_pref_size 12
		.amdhsa_round_robin_scheduling 0
		.amdhsa_exception_fp_ieee_invalid_op 0
		.amdhsa_exception_fp_denorm_src 0
		.amdhsa_exception_fp_ieee_div_zero 0
		.amdhsa_exception_fp_ieee_overflow 0
		.amdhsa_exception_fp_ieee_underflow 0
		.amdhsa_exception_fp_ieee_inexact 0
		.amdhsa_exception_int_div_zero 0
	.end_amdhsa_kernel
	.section	.text._ZN2at6native12_GLOBAL__N_124searchsorted_cuda_kernelIN3c104HalfElEEvPT0_PKT_S9_PKllllbb,"axG",@progbits,_ZN2at6native12_GLOBAL__N_124searchsorted_cuda_kernelIN3c104HalfElEEvPT0_PKT_S9_PKllllbb,comdat
.Lfunc_end7:
	.size	_ZN2at6native12_GLOBAL__N_124searchsorted_cuda_kernelIN3c104HalfElEEvPT0_PKT_S9_PKllllbb, .Lfunc_end7-_ZN2at6native12_GLOBAL__N_124searchsorted_cuda_kernelIN3c104HalfElEEvPT0_PKT_S9_PKllllbb
                                        ; -- End function
	.set _ZN2at6native12_GLOBAL__N_124searchsorted_cuda_kernelIN3c104HalfElEEvPT0_PKT_S9_PKllllbb.num_vgpr, 21
	.set _ZN2at6native12_GLOBAL__N_124searchsorted_cuda_kernelIN3c104HalfElEEvPT0_PKT_S9_PKllllbb.num_agpr, 0
	.set _ZN2at6native12_GLOBAL__N_124searchsorted_cuda_kernelIN3c104HalfElEEvPT0_PKT_S9_PKllllbb.numbered_sgpr, 42
	.set _ZN2at6native12_GLOBAL__N_124searchsorted_cuda_kernelIN3c104HalfElEEvPT0_PKT_S9_PKllllbb.num_named_barrier, 0
	.set _ZN2at6native12_GLOBAL__N_124searchsorted_cuda_kernelIN3c104HalfElEEvPT0_PKT_S9_PKllllbb.private_seg_size, 0
	.set _ZN2at6native12_GLOBAL__N_124searchsorted_cuda_kernelIN3c104HalfElEEvPT0_PKT_S9_PKllllbb.uses_vcc, 1
	.set _ZN2at6native12_GLOBAL__N_124searchsorted_cuda_kernelIN3c104HalfElEEvPT0_PKT_S9_PKllllbb.uses_flat_scratch, 0
	.set _ZN2at6native12_GLOBAL__N_124searchsorted_cuda_kernelIN3c104HalfElEEvPT0_PKT_S9_PKllllbb.has_dyn_sized_stack, 0
	.set _ZN2at6native12_GLOBAL__N_124searchsorted_cuda_kernelIN3c104HalfElEEvPT0_PKT_S9_PKllllbb.has_recursion, 0
	.set _ZN2at6native12_GLOBAL__N_124searchsorted_cuda_kernelIN3c104HalfElEEvPT0_PKT_S9_PKllllbb.has_indirect_call, 0
	.section	.AMDGPU.csdata,"",@progbits
; Kernel info:
; codeLenInByte = 1536
; TotalNumSgprs: 44
; NumVgprs: 21
; ScratchSize: 0
; MemoryBound: 0
; FloatMode: 240
; IeeeMode: 1
; LDSByteSize: 0 bytes/workgroup (compile time only)
; SGPRBlocks: 0
; VGPRBlocks: 1
; NumSGPRsForWavesPerEU: 44
; NumVGPRsForWavesPerEU: 21
; NamedBarCnt: 0
; Occupancy: 16
; WaveLimiterHint : 0
; COMPUTE_PGM_RSRC2:SCRATCH_EN: 0
; COMPUTE_PGM_RSRC2:USER_SGPR: 2
; COMPUTE_PGM_RSRC2:TRAP_HANDLER: 0
; COMPUTE_PGM_RSRC2:TGID_X_EN: 1
; COMPUTE_PGM_RSRC2:TGID_Y_EN: 0
; COMPUTE_PGM_RSRC2:TGID_Z_EN: 0
; COMPUTE_PGM_RSRC2:TIDIG_COMP_CNT: 0
	.section	.text._ZN2at6native12_GLOBAL__N_124searchsorted_cuda_kernelIN3c108BFloat16ElEEvPT0_PKT_S9_PKllllbb,"axG",@progbits,_ZN2at6native12_GLOBAL__N_124searchsorted_cuda_kernelIN3c108BFloat16ElEEvPT0_PKT_S9_PKllllbb,comdat
	.globl	_ZN2at6native12_GLOBAL__N_124searchsorted_cuda_kernelIN3c108BFloat16ElEEvPT0_PKT_S9_PKllllbb ; -- Begin function _ZN2at6native12_GLOBAL__N_124searchsorted_cuda_kernelIN3c108BFloat16ElEEvPT0_PKT_S9_PKllllbb
	.p2align	8
	.type	_ZN2at6native12_GLOBAL__N_124searchsorted_cuda_kernelIN3c108BFloat16ElEEvPT0_PKT_S9_PKllllbb,@function
_ZN2at6native12_GLOBAL__N_124searchsorted_cuda_kernelIN3c108BFloat16ElEEvPT0_PKT_S9_PKllllbb: ; @_ZN2at6native12_GLOBAL__N_124searchsorted_cuda_kernelIN3c108BFloat16ElEEvPT0_PKT_S9_PKllllbb
; %bb.0:
	s_clause 0x1
	s_load_b32 s2, s[0:1], 0x4c
	s_load_b128 s[12:15], s[0:1], 0x30
	s_bfe_u32 s3, ttmp6, 0x4000c
	v_mov_b32_e32 v2, 0
	s_add_co_i32 s3, s3, 1
	s_and_b32 s4, ttmp6, 15
	s_mul_i32 s3, ttmp9, s3
	s_getreg_b32 s5, hwreg(HW_REG_IB_STS2, 6, 4)
	v_mov_b32_e32 v1, v2
	s_add_co_i32 s4, s4, s3
	s_wait_kmcnt 0x0
	s_and_b32 s2, s2, 0xffff
	s_cmp_eq_u32 s5, 0
	s_cselect_b32 s3, ttmp9, s4
	s_mov_b32 s4, exec_lo
	v_mad_nc_u64_u32 v[0:1], s2, s3, v[0:1]
	s_mov_b32 s3, 0
	s_delay_alu instid0(VALU_DEP_1)
	v_cmpx_gt_i64_e64 s[12:13], v[0:1]
	s_cbranch_execz .LBB8_28
; %bb.1:
	s_clause 0x2
	s_load_b128 s[16:19], s[0:1], 0x20
	s_load_b32 s14, s[0:1], 0x38
	s_load_b256 s[4:11], s[0:1], 0x0
	s_mov_b32 s21, s3
	s_mov_b32 s29, 0
	s_wait_kmcnt 0x0
	v_cvt_f32_u32_e32 v3, s16
	s_bitcmp1_b32 s14, 0
	v_cmp_gt_i64_e64 s28, s[18:19], 0
	s_cselect_b32 s15, -1, 0
	v_rcp_iflag_f32_e32 v3, v3
	s_xor_b32 s26, s15, -1
	s_bitcmp1_b32 s14, 8
	s_cselect_b32 s14, -1, 0
	v_cndmask_b32_e64 v18, 0, 1, s28
	s_xor_b32 s27, s14, -1
	s_delay_alu instid0(TRANS32_DEP_1)
	v_mul_f32_e32 v3, 0x4f7ffffe, v3
	s_cmp_lg_u64 s[10:11], 0
	s_add_nc_u64 s[14:15], s[0:1], 64
	s_cselect_b32 s1, -1, 0
	s_sub_co_i32 s0, 0, s16
	v_cvt_u32_f32_e32 v3, v3
	s_load_b32 s20, s[14:15], 0x0
	s_wait_xcnt 0x0
	s_mov_b64 s[14:15], 0xffffffff
	s_ashr_i32 s22, s17, 31
	v_mul_lo_u32 v4, s0, v3
	s_delay_alu instid0(VALU_DEP_1) | instskip(SKIP_2) | instid1(VALU_DEP_1)
	v_mul_hi_u32 v4, v3, v4
	s_wait_kmcnt 0x0
	s_mul_i32 s20, s20, s2
	v_add_nc_u32_e32 v19, v3, v4
	s_branch .LBB8_4
.LBB8_2:                                ;   in Loop: Header=BB8_4 Depth=1
	s_or_b32 exec_lo, exec_lo, s0
.LBB8_3:                                ;   in Loop: Header=BB8_4 Depth=1
	v_lshl_add_u64 v[6:7], v[0:1], 3, s[4:5]
	v_add_nc_u64_e32 v[0:1], s[20:21], v[0:1]
	s_delay_alu instid0(VALU_DEP_3) | instskip(NEXT) | instid1(VALU_DEP_2)
	v_sub_nc_u64_e32 v[4:5], v[8:9], v[4:5]
	v_cmp_le_i64_e32 vcc_lo, s[12:13], v[0:1]
	global_store_b64 v[6:7], v[4:5], off
	s_or_b32 s29, vcc_lo, s29
	s_wait_xcnt 0x0
	s_and_not1_b32 exec_lo, exec_lo, s29
	s_cbranch_execz .LBB8_28
.LBB8_4:                                ; =>This Loop Header: Depth=1
                                        ;     Child Loop BB8_14 Depth 2
                                        ;     Child Loop BB8_24 Depth 2
	v_mov_b64_e32 v[4:5], 0
	s_and_not1_b32 vcc_lo, exec_lo, s27
	s_cbranch_vccnz .LBB8_10
; %bb.5:                                ;   in Loop: Header=BB8_4 Depth=1
	v_or_b32_e32 v3, s17, v1
                                        ; implicit-def: $vgpr4_vgpr5
	s_mov_b32 s0, exec_lo
	s_delay_alu instid0(VALU_DEP_1)
	v_cmpx_ne_u64_e32 0, v[2:3]
	s_xor_b32 s30, exec_lo, s0
	s_cbranch_execz .LBB8_7
; %bb.6:                                ;   in Loop: Header=BB8_4 Depth=1
	s_mov_b32 s23, s22
	v_dual_mov_b32 v9, v2 :: v_dual_ashrrev_i32 v4, 31, v1
	s_add_nc_u64 s[24:25], s[16:17], s[22:23]
	s_delay_alu instid0(SALU_CYCLE_1) | instskip(NEXT) | instid1(VALU_DEP_1)
	s_xor_b64 s[24:25], s[24:25], s[22:23]
	v_mov_b32_e32 v5, v4
	s_cvt_f32_u32 s0, s24
	s_cvt_f32_u32 s2, s25
	s_sub_nc_u64 s[36:37], 0, s[24:25]
	s_delay_alu instid0(VALU_DEP_1) | instskip(NEXT) | instid1(SALU_CYCLE_1)
	v_add_nc_u64_e32 v[6:7], v[0:1], v[4:5]
	s_fmamk_f32 s0, s2, 0x4f800000, s0
	v_mov_b32_e32 v13, v2
	s_delay_alu instid0(SALU_CYCLE_2) | instskip(NEXT) | instid1(VALU_DEP_2)
	v_s_rcp_f32 s0, s0
	v_xor_b32_e32 v8, v6, v4
	s_delay_alu instid0(VALU_DEP_3) | instskip(SKIP_1) | instid1(TRANS32_DEP_1)
	v_dual_mov_b32 v17, v2 :: v_dual_bitop2_b32 v12, v7, v4 bitop3:0x14
	v_xor_b32_e32 v4, s22, v4
	s_mul_f32 s0, s0, 0x5f7ffffc
	s_delay_alu instid0(SALU_CYCLE_3) | instskip(NEXT) | instid1(SALU_CYCLE_3)
	s_mul_f32 s2, s0, 0x2f800000
	s_trunc_f32 s2, s2
	s_delay_alu instid0(SALU_CYCLE_3) | instskip(SKIP_1) | instid1(SALU_CYCLE_2)
	s_fmamk_f32 s0, s2, 0xcf800000, s0
	s_cvt_u32_f32 s35, s2
	s_cvt_u32_f32 s34, s0
	s_delay_alu instid0(SALU_CYCLE_3) | instskip(NEXT) | instid1(SALU_CYCLE_1)
	s_mul_u64 s[38:39], s[36:37], s[34:35]
	s_mul_hi_u32 s41, s34, s39
	s_mul_i32 s40, s34, s39
	s_mul_hi_u32 s2, s34, s38
	s_mul_i32 s23, s35, s38
	s_add_nc_u64 s[40:41], s[2:3], s[40:41]
	s_mul_hi_u32 s0, s35, s38
	s_mul_hi_u32 s31, s35, s39
	s_add_co_u32 s2, s40, s23
	s_add_co_ci_u32 s2, s41, s0
	s_mul_i32 s38, s35, s39
	s_add_co_ci_u32 s39, s31, 0
	s_delay_alu instid0(SALU_CYCLE_1) | instskip(NEXT) | instid1(SALU_CYCLE_1)
	s_add_nc_u64 s[38:39], s[2:3], s[38:39]
	s_add_co_u32 s34, s34, s38
	s_cselect_b32 s0, -1, 0
	s_delay_alu instid0(SALU_CYCLE_1) | instskip(SKIP_1) | instid1(SALU_CYCLE_1)
	s_cmp_lg_u32 s0, 0
	s_add_co_ci_u32 s35, s35, s39
	s_mul_u64 s[36:37], s[36:37], s[34:35]
	s_delay_alu instid0(SALU_CYCLE_1)
	s_mul_hi_u32 s39, s34, s37
	s_mul_i32 s38, s34, s37
	s_mul_hi_u32 s2, s34, s36
	s_mul_i32 s23, s35, s36
	s_add_nc_u64 s[38:39], s[2:3], s[38:39]
	s_mul_hi_u32 s0, s35, s36
	s_mul_hi_u32 s31, s35, s37
	s_add_co_u32 s2, s38, s23
	s_add_co_ci_u32 s2, s39, s0
	s_mul_i32 s36, s35, s37
	s_add_co_ci_u32 s37, s31, 0
	s_delay_alu instid0(SALU_CYCLE_1) | instskip(NEXT) | instid1(SALU_CYCLE_1)
	s_add_nc_u64 s[36:37], s[2:3], s[36:37]
	s_add_co_u32 s0, s34, s36
	s_cselect_b32 s2, -1, 0
	v_mul_hi_u32 v16, v8, s0
	s_cmp_lg_u32 s2, 0
	s_add_co_ci_u32 s2, s35, s37
	s_and_b64 s[34:35], s[0:1], s[14:15]
	v_mul_u64_e32 v[10:11], s[2:3], v[8:9]
	v_mul_u64_e32 v[6:7], s[34:35], v[12:13]
	v_mul_u64_e32 v[14:15], s[2:3], v[12:13]
	s_delay_alu instid0(VALU_DEP_3) | instskip(NEXT) | instid1(VALU_DEP_1)
	v_add_nc_u64_e32 v[10:11], v[16:17], v[10:11]
	v_add_co_u32 v3, vcc_lo, v10, v6
	s_delay_alu instid0(VALU_DEP_2) | instskip(NEXT) | instid1(VALU_DEP_4)
	v_add_co_ci_u32_e32 v16, vcc_lo, v11, v7, vcc_lo
	v_add_co_ci_u32_e32 v15, vcc_lo, 0, v15, vcc_lo
	s_delay_alu instid0(VALU_DEP_1) | instskip(NEXT) | instid1(VALU_DEP_1)
	v_add_nc_u64_e32 v[6:7], v[16:17], v[14:15]
	v_mul_u64_e32 v[10:11], s[24:25], v[6:7]
	s_delay_alu instid0(VALU_DEP_1) | instskip(NEXT) | instid1(VALU_DEP_2)
	v_sub_nc_u32_e32 v3, v12, v11
	v_sub_co_u32 v5, vcc_lo, v8, v10
	s_delay_alu instid0(VALU_DEP_1) | instskip(NEXT) | instid1(VALU_DEP_3)
	v_sub_co_ci_u32_e64 v12, null, v12, v11, vcc_lo
	v_subrev_co_ci_u32_e64 v3, null, s25, v3, vcc_lo
	s_delay_alu instid0(VALU_DEP_3) | instskip(SKIP_1) | instid1(VALU_DEP_3)
	v_sub_co_u32 v8, s0, v5, s24
	v_add_nc_u64_e32 v[10:11], 1, v[6:7]
	v_subrev_co_ci_u32_e64 v3, null, 0, v3, s0
	s_delay_alu instid0(VALU_DEP_3) | instskip(SKIP_1) | instid1(VALU_DEP_3)
	v_cmp_le_u32_e32 vcc_lo, s24, v8
	v_cndmask_b32_e64 v8, 0, -1, vcc_lo
	v_cmp_le_u32_e32 vcc_lo, s25, v3
	v_cndmask_b32_e64 v9, 0, -1, vcc_lo
	;; [unrolled: 2-line block ×4, first 2 shown]
	v_cmp_eq_u32_e32 vcc_lo, s25, v3
	v_cndmask_b32_e32 v3, v9, v8, vcc_lo
	v_cmp_eq_u32_e32 vcc_lo, s25, v12
	v_add_nc_u64_e32 v[8:9], 2, v[6:7]
	v_cndmask_b32_e32 v5, v13, v5, vcc_lo
	s_delay_alu instid0(VALU_DEP_4) | instskip(NEXT) | instid1(VALU_DEP_2)
	v_cmp_ne_u32_e32 vcc_lo, 0, v3
	v_cmp_ne_u32_e64 s0, 0, v5
	s_delay_alu instid0(VALU_DEP_4) | instskip(NEXT) | instid1(VALU_DEP_1)
	v_dual_cndmask_b32 v3, v11, v9, vcc_lo :: v_dual_cndmask_b32 v5, v10, v8, vcc_lo
	v_dual_cndmask_b32 v6, v6, v5, s0 :: v_dual_mov_b32 v5, v4
	s_delay_alu instid0(VALU_DEP_1) | instskip(NEXT) | instid1(VALU_DEP_1)
	v_dual_cndmask_b32 v3, v7, v3, s0 :: v_dual_bitop2_b32 v6, v6, v4 bitop3:0x14
	v_xor_b32_e32 v7, v3, v4
	s_delay_alu instid0(VALU_DEP_1)
	v_sub_nc_u64_e32 v[4:5], v[6:7], v[4:5]
.LBB8_7:                                ;   in Loop: Header=BB8_4 Depth=1
	s_and_not1_saveexec_b32 s0, s30
	s_cbranch_execz .LBB8_9
; %bb.8:                                ;   in Loop: Header=BB8_4 Depth=1
	v_mul_hi_u32 v3, v0, v19
	s_delay_alu instid0(VALU_DEP_1) | instskip(NEXT) | instid1(VALU_DEP_1)
	v_mul_lo_u32 v4, v3, s16
	v_dual_add_nc_u32 v5, 1, v3 :: v_dual_sub_nc_u32 v4, v0, v4
	s_delay_alu instid0(VALU_DEP_1) | instskip(SKIP_1) | instid1(VALU_DEP_2)
	v_subrev_nc_u32_e32 v6, s16, v4
	v_cmp_le_u32_e32 vcc_lo, s16, v4
	v_dual_cndmask_b32 v4, v4, v6 :: v_dual_cndmask_b32 v3, v3, v5
	s_delay_alu instid0(VALU_DEP_1) | instskip(NEXT) | instid1(VALU_DEP_2)
	v_cmp_le_u32_e32 vcc_lo, s16, v4
	v_add_nc_u32_e32 v5, 1, v3
	s_delay_alu instid0(VALU_DEP_1)
	v_dual_cndmask_b32 v4, v3, v5 :: v_dual_mov_b32 v5, v2
.LBB8_9:                                ;   in Loop: Header=BB8_4 Depth=1
	s_or_b32 exec_lo, exec_lo, s0
	s_delay_alu instid0(VALU_DEP_1)
	v_mul_u64_e32 v[4:5], s[18:19], v[4:5]
.LBB8_10:                               ;   in Loop: Header=BB8_4 Depth=1
	s_delay_alu instid0(VALU_DEP_1)
	v_add_nc_u64_e32 v[6:7], s[18:19], v[4:5]
	v_cmp_ne_u32_e64 s0, 1, v18
	s_and_not1_b32 vcc_lo, exec_lo, s26
	s_mov_b32 s2, -1
                                        ; implicit-def: $vgpr8_vgpr9
	s_cbranch_vccnz .LBB8_20
; %bb.11:                               ;   in Loop: Header=BB8_4 Depth=1
	v_mov_b64_e32 v[8:9], v[4:5]
	s_and_b32 vcc_lo, exec_lo, s0
	s_cbranch_vccnz .LBB8_19
; %bb.12:                               ;   in Loop: Header=BB8_4 Depth=1
	v_lshl_add_u64 v[8:9], v[0:1], 1, s[6:7]
	v_mov_b64_e32 v[12:13], v[6:7]
	v_lshl_add_u64 v[10:11], v[4:5], 1, s[8:9]
	s_mov_b32 s0, 0
	global_load_u16 v3, v[8:9], off
	s_wait_xcnt 0x0
	v_mov_b64_e32 v[8:9], v[4:5]
	s_wait_loadcnt 0x0
	v_lshlrev_b32_e32 v3, 16, v3
	s_branch .LBB8_14
.LBB8_13:                               ;   in Loop: Header=BB8_14 Depth=2
	global_load_u16 v16, v[16:17], off
	s_wait_loadcnt 0x0
	v_lshlrev_b32_e32 v20, 16, v16
	s_wait_xcnt 0x0
	v_add_nc_u64_e32 v[16:17], 1, v[14:15]
	s_delay_alu instid0(VALU_DEP_2) | instskip(SKIP_1) | instid1(VALU_DEP_3)
	v_cmp_nge_f32_e32 vcc_lo, v20, v3
	v_dual_cndmask_b32 v13, v15, v13 :: v_dual_cndmask_b32 v12, v14, v12
	v_dual_cndmask_b32 v9, v9, v17 :: v_dual_cndmask_b32 v8, v8, v16
	s_delay_alu instid0(VALU_DEP_1) | instskip(SKIP_1) | instid1(SALU_CYCLE_1)
	v_cmp_ge_i64_e32 vcc_lo, v[8:9], v[12:13]
	s_or_b32 s0, vcc_lo, s0
	s_and_not1_b32 exec_lo, exec_lo, s0
	s_cbranch_execz .LBB8_18
.LBB8_14:                               ;   Parent Loop BB8_4 Depth=1
                                        ; =>  This Inner Loop Header: Depth=2
	s_delay_alu instid0(VALU_DEP_2) | instskip(SKIP_1) | instid1(VALU_DEP_1)
	v_sub_nc_u64_e32 v[14:15], v[12:13], v[8:9]
	s_and_not1_b32 vcc_lo, exec_lo, s1
	v_lshrrev_b64 v[14:15], 1, v[14:15]
	s_delay_alu instid0(VALU_DEP_1)
	v_add_nc_u64_e32 v[14:15], v[14:15], v[8:9]
	s_cbranch_vccnz .LBB8_16
; %bb.15:                               ;   in Loop: Header=BB8_14 Depth=2
	s_delay_alu instid0(VALU_DEP_1)
	v_lshl_add_u64 v[16:17], v[14:15], 3, s[10:11]
	global_load_b64 v[16:17], v[16:17], off
	s_wait_loadcnt 0x0
	s_wait_xcnt 0x0
	v_lshl_add_u64 v[16:17], v[16:17], 1, v[10:11]
	s_cbranch_execnz .LBB8_13
	s_branch .LBB8_17
.LBB8_16:                               ;   in Loop: Header=BB8_14 Depth=2
                                        ; implicit-def: $vgpr16_vgpr17
.LBB8_17:                               ;   in Loop: Header=BB8_14 Depth=2
	s_delay_alu instid0(VALU_DEP_1)
	v_lshl_add_u64 v[16:17], v[14:15], 1, s[8:9]
	s_branch .LBB8_13
.LBB8_18:                               ;   in Loop: Header=BB8_4 Depth=1
	s_or_b32 exec_lo, exec_lo, s0
.LBB8_19:                               ;   in Loop: Header=BB8_4 Depth=1
	s_mov_b32 s2, 0
.LBB8_20:                               ;   in Loop: Header=BB8_4 Depth=1
	s_delay_alu instid0(SALU_CYCLE_1)
	s_and_not1_b32 vcc_lo, exec_lo, s2
	s_cbranch_vccnz .LBB8_3
; %bb.21:                               ;   in Loop: Header=BB8_4 Depth=1
	v_mov_b64_e32 v[8:9], v[4:5]
	s_and_not1_b32 vcc_lo, exec_lo, s28
	s_cbranch_vccnz .LBB8_3
; %bb.22:                               ;   in Loop: Header=BB8_4 Depth=1
	v_lshl_add_u64 v[8:9], v[0:1], 1, s[6:7]
	v_lshl_add_u64 v[10:11], v[4:5], 1, s[8:9]
	s_mov_b32 s0, 0
	global_load_u16 v3, v[8:9], off
	s_wait_xcnt 0x0
	v_mov_b64_e32 v[8:9], v[4:5]
	s_wait_loadcnt 0x0
	v_lshlrev_b32_e32 v3, 16, v3
	s_branch .LBB8_24
.LBB8_23:                               ;   in Loop: Header=BB8_24 Depth=2
	global_load_u16 v14, v[14:15], off
	s_wait_loadcnt 0x0
	v_lshlrev_b32_e32 v16, 16, v14
	s_wait_xcnt 0x0
	v_add_nc_u64_e32 v[14:15], 1, v[12:13]
	s_delay_alu instid0(VALU_DEP_2) | instskip(SKIP_1) | instid1(VALU_DEP_3)
	v_cmp_gt_f32_e32 vcc_lo, v16, v3
	v_dual_cndmask_b32 v7, v7, v13 :: v_dual_cndmask_b32 v6, v6, v12
	v_dual_cndmask_b32 v9, v15, v9 :: v_dual_cndmask_b32 v8, v14, v8
	s_delay_alu instid0(VALU_DEP_1) | instskip(SKIP_1) | instid1(SALU_CYCLE_1)
	v_cmp_ge_i64_e32 vcc_lo, v[8:9], v[6:7]
	s_or_b32 s0, vcc_lo, s0
	s_and_not1_b32 exec_lo, exec_lo, s0
	s_cbranch_execz .LBB8_2
.LBB8_24:                               ;   Parent Loop BB8_4 Depth=1
                                        ; =>  This Inner Loop Header: Depth=2
	s_delay_alu instid0(VALU_DEP_2) | instskip(SKIP_1) | instid1(VALU_DEP_1)
	v_sub_nc_u64_e32 v[12:13], v[6:7], v[8:9]
	s_and_not1_b32 vcc_lo, exec_lo, s1
	v_lshrrev_b64 v[12:13], 1, v[12:13]
	s_delay_alu instid0(VALU_DEP_1)
	v_add_nc_u64_e32 v[12:13], v[12:13], v[8:9]
	s_cbranch_vccnz .LBB8_26
; %bb.25:                               ;   in Loop: Header=BB8_24 Depth=2
	s_delay_alu instid0(VALU_DEP_1)
	v_lshl_add_u64 v[14:15], v[12:13], 3, s[10:11]
	global_load_b64 v[14:15], v[14:15], off
	s_wait_loadcnt 0x0
	s_wait_xcnt 0x0
	v_lshl_add_u64 v[14:15], v[14:15], 1, v[10:11]
	s_cbranch_execnz .LBB8_23
	s_branch .LBB8_27
.LBB8_26:                               ;   in Loop: Header=BB8_24 Depth=2
                                        ; implicit-def: $vgpr14_vgpr15
.LBB8_27:                               ;   in Loop: Header=BB8_24 Depth=2
	s_delay_alu instid0(VALU_DEP_1)
	v_lshl_add_u64 v[14:15], v[12:13], 1, s[8:9]
	s_branch .LBB8_23
.LBB8_28:
	s_endpgm
	.section	.rodata,"a",@progbits
	.p2align	6, 0x0
	.amdhsa_kernel _ZN2at6native12_GLOBAL__N_124searchsorted_cuda_kernelIN3c108BFloat16ElEEvPT0_PKT_S9_PKllllbb
		.amdhsa_group_segment_fixed_size 0
		.amdhsa_private_segment_fixed_size 0
		.amdhsa_kernarg_size 320
		.amdhsa_user_sgpr_count 2
		.amdhsa_user_sgpr_dispatch_ptr 0
		.amdhsa_user_sgpr_queue_ptr 0
		.amdhsa_user_sgpr_kernarg_segment_ptr 1
		.amdhsa_user_sgpr_dispatch_id 0
		.amdhsa_user_sgpr_kernarg_preload_length 0
		.amdhsa_user_sgpr_kernarg_preload_offset 0
		.amdhsa_user_sgpr_private_segment_size 0
		.amdhsa_wavefront_size32 1
		.amdhsa_uses_dynamic_stack 0
		.amdhsa_enable_private_segment 0
		.amdhsa_system_sgpr_workgroup_id_x 1
		.amdhsa_system_sgpr_workgroup_id_y 0
		.amdhsa_system_sgpr_workgroup_id_z 0
		.amdhsa_system_sgpr_workgroup_info 0
		.amdhsa_system_vgpr_workitem_id 0
		.amdhsa_next_free_vgpr 21
		.amdhsa_next_free_sgpr 42
		.amdhsa_named_barrier_count 0
		.amdhsa_reserve_vcc 1
		.amdhsa_float_round_mode_32 0
		.amdhsa_float_round_mode_16_64 0
		.amdhsa_float_denorm_mode_32 3
		.amdhsa_float_denorm_mode_16_64 3
		.amdhsa_fp16_overflow 0
		.amdhsa_memory_ordered 1
		.amdhsa_forward_progress 1
		.amdhsa_inst_pref_size 13
		.amdhsa_round_robin_scheduling 0
		.amdhsa_exception_fp_ieee_invalid_op 0
		.amdhsa_exception_fp_denorm_src 0
		.amdhsa_exception_fp_ieee_div_zero 0
		.amdhsa_exception_fp_ieee_overflow 0
		.amdhsa_exception_fp_ieee_underflow 0
		.amdhsa_exception_fp_ieee_inexact 0
		.amdhsa_exception_int_div_zero 0
	.end_amdhsa_kernel
	.section	.text._ZN2at6native12_GLOBAL__N_124searchsorted_cuda_kernelIN3c108BFloat16ElEEvPT0_PKT_S9_PKllllbb,"axG",@progbits,_ZN2at6native12_GLOBAL__N_124searchsorted_cuda_kernelIN3c108BFloat16ElEEvPT0_PKT_S9_PKllllbb,comdat
.Lfunc_end8:
	.size	_ZN2at6native12_GLOBAL__N_124searchsorted_cuda_kernelIN3c108BFloat16ElEEvPT0_PKT_S9_PKllllbb, .Lfunc_end8-_ZN2at6native12_GLOBAL__N_124searchsorted_cuda_kernelIN3c108BFloat16ElEEvPT0_PKT_S9_PKllllbb
                                        ; -- End function
	.set _ZN2at6native12_GLOBAL__N_124searchsorted_cuda_kernelIN3c108BFloat16ElEEvPT0_PKT_S9_PKllllbb.num_vgpr, 21
	.set _ZN2at6native12_GLOBAL__N_124searchsorted_cuda_kernelIN3c108BFloat16ElEEvPT0_PKT_S9_PKllllbb.num_agpr, 0
	.set _ZN2at6native12_GLOBAL__N_124searchsorted_cuda_kernelIN3c108BFloat16ElEEvPT0_PKT_S9_PKllllbb.numbered_sgpr, 42
	.set _ZN2at6native12_GLOBAL__N_124searchsorted_cuda_kernelIN3c108BFloat16ElEEvPT0_PKT_S9_PKllllbb.num_named_barrier, 0
	.set _ZN2at6native12_GLOBAL__N_124searchsorted_cuda_kernelIN3c108BFloat16ElEEvPT0_PKT_S9_PKllllbb.private_seg_size, 0
	.set _ZN2at6native12_GLOBAL__N_124searchsorted_cuda_kernelIN3c108BFloat16ElEEvPT0_PKT_S9_PKllllbb.uses_vcc, 1
	.set _ZN2at6native12_GLOBAL__N_124searchsorted_cuda_kernelIN3c108BFloat16ElEEvPT0_PKT_S9_PKllllbb.uses_flat_scratch, 0
	.set _ZN2at6native12_GLOBAL__N_124searchsorted_cuda_kernelIN3c108BFloat16ElEEvPT0_PKT_S9_PKllllbb.has_dyn_sized_stack, 0
	.set _ZN2at6native12_GLOBAL__N_124searchsorted_cuda_kernelIN3c108BFloat16ElEEvPT0_PKT_S9_PKllllbb.has_recursion, 0
	.set _ZN2at6native12_GLOBAL__N_124searchsorted_cuda_kernelIN3c108BFloat16ElEEvPT0_PKT_S9_PKllllbb.has_indirect_call, 0
	.section	.AMDGPU.csdata,"",@progbits
; Kernel info:
; codeLenInByte = 1560
; TotalNumSgprs: 44
; NumVgprs: 21
; ScratchSize: 0
; MemoryBound: 0
; FloatMode: 240
; IeeeMode: 1
; LDSByteSize: 0 bytes/workgroup (compile time only)
; SGPRBlocks: 0
; VGPRBlocks: 1
; NumSGPRsForWavesPerEU: 44
; NumVGPRsForWavesPerEU: 21
; NamedBarCnt: 0
; Occupancy: 16
; WaveLimiterHint : 0
; COMPUTE_PGM_RSRC2:SCRATCH_EN: 0
; COMPUTE_PGM_RSRC2:USER_SGPR: 2
; COMPUTE_PGM_RSRC2:TRAP_HANDLER: 0
; COMPUTE_PGM_RSRC2:TGID_X_EN: 1
; COMPUTE_PGM_RSRC2:TGID_Y_EN: 0
; COMPUTE_PGM_RSRC2:TGID_Z_EN: 0
; COMPUTE_PGM_RSRC2:TIDIG_COMP_CNT: 0
	.section	.text._ZN2at6native12_GLOBAL__N_124searchsorted_cuda_kernelIhiEEvPT0_PKT_S7_PKllllbb,"axG",@progbits,_ZN2at6native12_GLOBAL__N_124searchsorted_cuda_kernelIhiEEvPT0_PKT_S7_PKllllbb,comdat
	.globl	_ZN2at6native12_GLOBAL__N_124searchsorted_cuda_kernelIhiEEvPT0_PKT_S7_PKllllbb ; -- Begin function _ZN2at6native12_GLOBAL__N_124searchsorted_cuda_kernelIhiEEvPT0_PKT_S7_PKllllbb
	.p2align	8
	.type	_ZN2at6native12_GLOBAL__N_124searchsorted_cuda_kernelIhiEEvPT0_PKT_S7_PKllllbb,@function
_ZN2at6native12_GLOBAL__N_124searchsorted_cuda_kernelIhiEEvPT0_PKT_S7_PKllllbb: ; @_ZN2at6native12_GLOBAL__N_124searchsorted_cuda_kernelIhiEEvPT0_PKT_S7_PKllllbb
; %bb.0:
	s_clause 0x1
	s_load_b32 s2, s[0:1], 0x4c
	s_load_b128 s[12:15], s[0:1], 0x30
	s_bfe_u32 s3, ttmp6, 0x4000c
	v_mov_b32_e32 v2, 0
	s_add_co_i32 s3, s3, 1
	s_and_b32 s4, ttmp6, 15
	s_mul_i32 s3, ttmp9, s3
	s_getreg_b32 s5, hwreg(HW_REG_IB_STS2, 6, 4)
	v_mov_b32_e32 v1, v2
	s_add_co_i32 s4, s4, s3
	s_wait_kmcnt 0x0
	s_and_b32 s2, s2, 0xffff
	s_cmp_eq_u32 s5, 0
	s_cselect_b32 s3, ttmp9, s4
	s_mov_b32 s4, exec_lo
	v_mad_nc_u64_u32 v[0:1], s2, s3, v[0:1]
	s_mov_b32 s3, 0
	s_delay_alu instid0(VALU_DEP_1)
	v_cmpx_gt_i64_e64 s[12:13], v[0:1]
	s_cbranch_execz .LBB9_28
; %bb.1:
	s_clause 0x2
	s_load_b128 s[16:19], s[0:1], 0x20
	s_load_b32 s14, s[0:1], 0x38
	s_load_b256 s[4:11], s[0:1], 0x0
	s_mov_b32 s21, s3
	s_mov_b32 s29, 0
	s_wait_kmcnt 0x0
	v_cvt_f32_u32_e32 v3, s16
	s_bitcmp1_b32 s14, 0
	v_cmp_gt_i64_e64 s28, s[18:19], 0
	s_cselect_b32 s15, -1, 0
	v_rcp_iflag_f32_e32 v3, v3
	s_xor_b32 s26, s15, -1
	s_bitcmp1_b32 s14, 8
	s_cselect_b32 s14, -1, 0
	v_cndmask_b32_e64 v18, 0, 1, s28
	s_xor_b32 s27, s14, -1
	s_delay_alu instid0(TRANS32_DEP_1)
	v_mul_f32_e32 v3, 0x4f7ffffe, v3
	s_cmp_lg_u64 s[10:11], 0
	s_add_nc_u64 s[14:15], s[0:1], 64
	s_cselect_b32 s1, -1, 0
	s_sub_co_i32 s0, 0, s16
	v_cvt_u32_f32_e32 v3, v3
	s_load_b32 s20, s[14:15], 0x0
	s_wait_xcnt 0x0
	s_mov_b64 s[14:15], 0xffffffff
	s_ashr_i32 s22, s17, 31
	v_mul_lo_u32 v4, s0, v3
	s_delay_alu instid0(VALU_DEP_1) | instskip(SKIP_2) | instid1(VALU_DEP_1)
	v_mul_hi_u32 v4, v3, v4
	s_wait_kmcnt 0x0
	s_mul_i32 s20, s20, s2
	v_add_nc_u32_e32 v19, v3, v4
	s_branch .LBB9_4
.LBB9_2:                                ;   in Loop: Header=BB9_4 Depth=1
	s_or_b32 exec_lo, exec_lo, s0
.LBB9_3:                                ;   in Loop: Header=BB9_4 Depth=1
	v_lshl_add_u64 v[6:7], v[0:1], 2, s[4:5]
	v_add_nc_u64_e32 v[0:1], s[20:21], v[0:1]
	s_wait_loadcnt 0x0
	s_delay_alu instid0(VALU_DEP_3)
	v_sub_nc_u32_e32 v3, v8, v4
	global_store_b32 v[6:7], v3, off
	v_cmp_le_i64_e32 vcc_lo, s[12:13], v[0:1]
	s_or_b32 s29, vcc_lo, s29
	s_wait_xcnt 0x0
	s_and_not1_b32 exec_lo, exec_lo, s29
	s_cbranch_execz .LBB9_28
.LBB9_4:                                ; =>This Loop Header: Depth=1
                                        ;     Child Loop BB9_14 Depth 2
                                        ;     Child Loop BB9_24 Depth 2
	v_mov_b64_e32 v[4:5], 0
	s_and_not1_b32 vcc_lo, exec_lo, s27
	s_cbranch_vccnz .LBB9_10
; %bb.5:                                ;   in Loop: Header=BB9_4 Depth=1
	v_or_b32_e32 v3, s17, v1
                                        ; implicit-def: $vgpr4_vgpr5
	s_mov_b32 s0, exec_lo
	s_delay_alu instid0(VALU_DEP_1)
	v_cmpx_ne_u64_e32 0, v[2:3]
	s_xor_b32 s30, exec_lo, s0
	s_cbranch_execz .LBB9_7
; %bb.6:                                ;   in Loop: Header=BB9_4 Depth=1
	s_mov_b32 s23, s22
	v_dual_mov_b32 v9, v2 :: v_dual_ashrrev_i32 v4, 31, v1
	s_add_nc_u64 s[24:25], s[16:17], s[22:23]
	s_delay_alu instid0(SALU_CYCLE_1) | instskip(NEXT) | instid1(VALU_DEP_1)
	s_xor_b64 s[24:25], s[24:25], s[22:23]
	v_mov_b32_e32 v5, v4
	s_cvt_f32_u32 s0, s24
	s_cvt_f32_u32 s2, s25
	s_sub_nc_u64 s[36:37], 0, s[24:25]
	s_delay_alu instid0(VALU_DEP_1) | instskip(NEXT) | instid1(SALU_CYCLE_1)
	v_add_nc_u64_e32 v[6:7], v[0:1], v[4:5]
	s_fmamk_f32 s0, s2, 0x4f800000, s0
	v_mov_b32_e32 v13, v2
	s_delay_alu instid0(SALU_CYCLE_2) | instskip(NEXT) | instid1(VALU_DEP_2)
	v_s_rcp_f32 s0, s0
	v_xor_b32_e32 v8, v6, v4
	s_delay_alu instid0(VALU_DEP_3) | instskip(SKIP_1) | instid1(TRANS32_DEP_1)
	v_dual_mov_b32 v17, v2 :: v_dual_bitop2_b32 v12, v7, v4 bitop3:0x14
	v_xor_b32_e32 v4, s22, v4
	s_mul_f32 s0, s0, 0x5f7ffffc
	s_delay_alu instid0(SALU_CYCLE_3) | instskip(NEXT) | instid1(SALU_CYCLE_3)
	s_mul_f32 s2, s0, 0x2f800000
	s_trunc_f32 s2, s2
	s_delay_alu instid0(SALU_CYCLE_3) | instskip(SKIP_1) | instid1(SALU_CYCLE_2)
	s_fmamk_f32 s0, s2, 0xcf800000, s0
	s_cvt_u32_f32 s35, s2
	s_cvt_u32_f32 s34, s0
	s_delay_alu instid0(SALU_CYCLE_3) | instskip(NEXT) | instid1(SALU_CYCLE_1)
	s_mul_u64 s[38:39], s[36:37], s[34:35]
	s_mul_hi_u32 s41, s34, s39
	s_mul_i32 s40, s34, s39
	s_mul_hi_u32 s2, s34, s38
	s_mul_i32 s23, s35, s38
	s_add_nc_u64 s[40:41], s[2:3], s[40:41]
	s_mul_hi_u32 s0, s35, s38
	s_mul_hi_u32 s31, s35, s39
	s_add_co_u32 s2, s40, s23
	s_add_co_ci_u32 s2, s41, s0
	s_mul_i32 s38, s35, s39
	s_add_co_ci_u32 s39, s31, 0
	s_delay_alu instid0(SALU_CYCLE_1) | instskip(NEXT) | instid1(SALU_CYCLE_1)
	s_add_nc_u64 s[38:39], s[2:3], s[38:39]
	s_add_co_u32 s34, s34, s38
	s_cselect_b32 s0, -1, 0
	s_delay_alu instid0(SALU_CYCLE_1) | instskip(SKIP_1) | instid1(SALU_CYCLE_1)
	s_cmp_lg_u32 s0, 0
	s_add_co_ci_u32 s35, s35, s39
	s_mul_u64 s[36:37], s[36:37], s[34:35]
	s_delay_alu instid0(SALU_CYCLE_1)
	s_mul_hi_u32 s39, s34, s37
	s_mul_i32 s38, s34, s37
	s_mul_hi_u32 s2, s34, s36
	s_mul_i32 s23, s35, s36
	s_add_nc_u64 s[38:39], s[2:3], s[38:39]
	s_mul_hi_u32 s0, s35, s36
	s_mul_hi_u32 s31, s35, s37
	s_add_co_u32 s2, s38, s23
	s_add_co_ci_u32 s2, s39, s0
	s_mul_i32 s36, s35, s37
	s_add_co_ci_u32 s37, s31, 0
	s_delay_alu instid0(SALU_CYCLE_1) | instskip(NEXT) | instid1(SALU_CYCLE_1)
	s_add_nc_u64 s[36:37], s[2:3], s[36:37]
	s_add_co_u32 s0, s34, s36
	s_cselect_b32 s2, -1, 0
	v_mul_hi_u32 v16, v8, s0
	s_cmp_lg_u32 s2, 0
	s_add_co_ci_u32 s2, s35, s37
	s_and_b64 s[34:35], s[0:1], s[14:15]
	v_mul_u64_e32 v[10:11], s[2:3], v[8:9]
	v_mul_u64_e32 v[6:7], s[34:35], v[12:13]
	;; [unrolled: 1-line block ×3, first 2 shown]
	s_delay_alu instid0(VALU_DEP_3) | instskip(NEXT) | instid1(VALU_DEP_1)
	v_add_nc_u64_e32 v[10:11], v[16:17], v[10:11]
	v_add_co_u32 v3, vcc_lo, v10, v6
	s_delay_alu instid0(VALU_DEP_2) | instskip(NEXT) | instid1(VALU_DEP_4)
	v_add_co_ci_u32_e32 v16, vcc_lo, v11, v7, vcc_lo
	v_add_co_ci_u32_e32 v15, vcc_lo, 0, v15, vcc_lo
	s_delay_alu instid0(VALU_DEP_1) | instskip(NEXT) | instid1(VALU_DEP_1)
	v_add_nc_u64_e32 v[6:7], v[16:17], v[14:15]
	v_mul_u64_e32 v[10:11], s[24:25], v[6:7]
	s_delay_alu instid0(VALU_DEP_1) | instskip(NEXT) | instid1(VALU_DEP_2)
	v_sub_nc_u32_e32 v3, v12, v11
	v_sub_co_u32 v5, vcc_lo, v8, v10
	s_delay_alu instid0(VALU_DEP_1) | instskip(NEXT) | instid1(VALU_DEP_3)
	v_sub_co_ci_u32_e64 v12, null, v12, v11, vcc_lo
	v_subrev_co_ci_u32_e64 v3, null, s25, v3, vcc_lo
	s_delay_alu instid0(VALU_DEP_3) | instskip(SKIP_1) | instid1(VALU_DEP_3)
	v_sub_co_u32 v8, s0, v5, s24
	v_add_nc_u64_e32 v[10:11], 1, v[6:7]
	v_subrev_co_ci_u32_e64 v3, null, 0, v3, s0
	s_delay_alu instid0(VALU_DEP_3) | instskip(SKIP_1) | instid1(VALU_DEP_3)
	v_cmp_le_u32_e32 vcc_lo, s24, v8
	v_cndmask_b32_e64 v8, 0, -1, vcc_lo
	v_cmp_le_u32_e32 vcc_lo, s25, v3
	v_cndmask_b32_e64 v9, 0, -1, vcc_lo
	;; [unrolled: 2-line block ×4, first 2 shown]
	v_cmp_eq_u32_e32 vcc_lo, s25, v3
	v_cndmask_b32_e32 v3, v9, v8, vcc_lo
	v_cmp_eq_u32_e32 vcc_lo, s25, v12
	v_add_nc_u64_e32 v[8:9], 2, v[6:7]
	v_cndmask_b32_e32 v5, v13, v5, vcc_lo
	s_delay_alu instid0(VALU_DEP_4) | instskip(NEXT) | instid1(VALU_DEP_2)
	v_cmp_ne_u32_e32 vcc_lo, 0, v3
	v_cmp_ne_u32_e64 s0, 0, v5
	s_delay_alu instid0(VALU_DEP_4) | instskip(NEXT) | instid1(VALU_DEP_1)
	v_dual_cndmask_b32 v3, v11, v9, vcc_lo :: v_dual_cndmask_b32 v5, v10, v8, vcc_lo
	v_dual_cndmask_b32 v6, v6, v5, s0 :: v_dual_mov_b32 v5, v4
	s_delay_alu instid0(VALU_DEP_1) | instskip(NEXT) | instid1(VALU_DEP_1)
	v_dual_cndmask_b32 v3, v7, v3, s0 :: v_dual_bitop2_b32 v6, v6, v4 bitop3:0x14
	v_xor_b32_e32 v7, v3, v4
	s_delay_alu instid0(VALU_DEP_1)
	v_sub_nc_u64_e32 v[4:5], v[6:7], v[4:5]
.LBB9_7:                                ;   in Loop: Header=BB9_4 Depth=1
	s_and_not1_saveexec_b32 s0, s30
	s_cbranch_execz .LBB9_9
; %bb.8:                                ;   in Loop: Header=BB9_4 Depth=1
	v_mul_hi_u32 v3, v0, v19
	s_delay_alu instid0(VALU_DEP_1) | instskip(NEXT) | instid1(VALU_DEP_1)
	v_mul_lo_u32 v4, v3, s16
	v_dual_add_nc_u32 v5, 1, v3 :: v_dual_sub_nc_u32 v4, v0, v4
	s_delay_alu instid0(VALU_DEP_1) | instskip(SKIP_1) | instid1(VALU_DEP_2)
	v_subrev_nc_u32_e32 v6, s16, v4
	v_cmp_le_u32_e32 vcc_lo, s16, v4
	v_dual_cndmask_b32 v4, v4, v6 :: v_dual_cndmask_b32 v3, v3, v5
	s_delay_alu instid0(VALU_DEP_1) | instskip(NEXT) | instid1(VALU_DEP_2)
	v_cmp_le_u32_e32 vcc_lo, s16, v4
	v_add_nc_u32_e32 v5, 1, v3
	s_delay_alu instid0(VALU_DEP_1)
	v_dual_cndmask_b32 v4, v3, v5 :: v_dual_mov_b32 v5, v2
.LBB9_9:                                ;   in Loop: Header=BB9_4 Depth=1
	s_or_b32 exec_lo, exec_lo, s0
	s_delay_alu instid0(VALU_DEP_1)
	v_mul_u64_e32 v[4:5], s[18:19], v[4:5]
.LBB9_10:                               ;   in Loop: Header=BB9_4 Depth=1
	v_add_nc_u64_e32 v[6:7], s[6:7], v[0:1]
	v_cmp_ne_u32_e64 s0, 1, v18
	s_and_not1_b32 vcc_lo, exec_lo, s26
	s_mov_b32 s2, -1
                                        ; implicit-def: $vgpr8_vgpr9
	global_load_u8 v3, v[6:7], off
	s_wait_xcnt 0x0
	v_add_nc_u64_e32 v[6:7], s[18:19], v[4:5]
	s_cbranch_vccnz .LBB9_20
; %bb.11:                               ;   in Loop: Header=BB9_4 Depth=1
	v_mov_b64_e32 v[8:9], v[4:5]
	s_and_b32 vcc_lo, exec_lo, s0
	s_cbranch_vccnz .LBB9_19
; %bb.12:                               ;   in Loop: Header=BB9_4 Depth=1
	v_add_nc_u64_e32 v[10:11], s[8:9], v[4:5]
	v_mov_b64_e32 v[8:9], v[4:5]
	v_mov_b64_e32 v[12:13], v[6:7]
	s_mov_b32 s0, 0
	s_branch .LBB9_14
.LBB9_13:                               ;   in Loop: Header=BB9_14 Depth=2
	global_load_u8 v20, v[16:17], off
	s_wait_loadcnt 0x1
	v_and_b32_e32 v21, 0xff, v3
	s_wait_xcnt 0x0
	v_add_nc_u64_e32 v[16:17], 1, v[14:15]
	s_wait_loadcnt 0x0
	s_delay_alu instid0(VALU_DEP_2) | instskip(SKIP_1) | instid1(VALU_DEP_3)
	v_cmp_lt_u16_e32 vcc_lo, v20, v21
	v_dual_cndmask_b32 v13, v15, v13 :: v_dual_cndmask_b32 v12, v14, v12
	v_dual_cndmask_b32 v9, v9, v17 :: v_dual_cndmask_b32 v8, v8, v16
	s_delay_alu instid0(VALU_DEP_1) | instskip(SKIP_1) | instid1(SALU_CYCLE_1)
	v_cmp_ge_i64_e32 vcc_lo, v[8:9], v[12:13]
	s_or_b32 s0, vcc_lo, s0
	s_and_not1_b32 exec_lo, exec_lo, s0
	s_cbranch_execz .LBB9_18
.LBB9_14:                               ;   Parent Loop BB9_4 Depth=1
                                        ; =>  This Inner Loop Header: Depth=2
	s_delay_alu instid0(VALU_DEP_1) | instskip(SKIP_1) | instid1(VALU_DEP_1)
	v_sub_nc_u64_e32 v[14:15], v[12:13], v[8:9]
	s_and_not1_b32 vcc_lo, exec_lo, s1
	v_lshrrev_b64 v[14:15], 1, v[14:15]
	s_delay_alu instid0(VALU_DEP_1)
	v_add_nc_u64_e32 v[14:15], v[14:15], v[8:9]
	s_cbranch_vccnz .LBB9_16
; %bb.15:                               ;   in Loop: Header=BB9_14 Depth=2
	s_delay_alu instid0(VALU_DEP_1)
	v_lshl_add_u64 v[16:17], v[14:15], 3, s[10:11]
	global_load_b64 v[16:17], v[16:17], off
	s_wait_loadcnt 0x0
	s_wait_xcnt 0x0
	v_add_nc_u64_e32 v[16:17], v[10:11], v[16:17]
	s_cbranch_execnz .LBB9_13
	s_branch .LBB9_17
.LBB9_16:                               ;   in Loop: Header=BB9_14 Depth=2
                                        ; implicit-def: $vgpr16_vgpr17
.LBB9_17:                               ;   in Loop: Header=BB9_14 Depth=2
	s_delay_alu instid0(VALU_DEP_1)
	v_add_nc_u64_e32 v[16:17], s[8:9], v[14:15]
	s_branch .LBB9_13
.LBB9_18:                               ;   in Loop: Header=BB9_4 Depth=1
	s_or_b32 exec_lo, exec_lo, s0
.LBB9_19:                               ;   in Loop: Header=BB9_4 Depth=1
	s_mov_b32 s2, 0
.LBB9_20:                               ;   in Loop: Header=BB9_4 Depth=1
	s_delay_alu instid0(SALU_CYCLE_1)
	s_and_not1_b32 vcc_lo, exec_lo, s2
	s_cbranch_vccnz .LBB9_3
; %bb.21:                               ;   in Loop: Header=BB9_4 Depth=1
	v_mov_b64_e32 v[8:9], v[4:5]
	s_and_not1_b32 vcc_lo, exec_lo, s28
	s_cbranch_vccnz .LBB9_3
; %bb.22:                               ;   in Loop: Header=BB9_4 Depth=1
	v_add_nc_u64_e32 v[10:11], s[8:9], v[4:5]
	v_mov_b64_e32 v[8:9], v[4:5]
	s_mov_b32 s0, 0
	s_branch .LBB9_24
.LBB9_23:                               ;   in Loop: Header=BB9_24 Depth=2
	global_load_u8 v5, v[14:15], off
	s_wait_loadcnt 0x1
	v_and_b32_e32 v16, 0xff, v3
	s_wait_xcnt 0x0
	v_add_nc_u64_e32 v[14:15], 1, v[12:13]
	s_wait_loadcnt 0x0
	s_delay_alu instid0(VALU_DEP_2) | instskip(SKIP_1) | instid1(VALU_DEP_3)
	v_cmp_gt_u16_e32 vcc_lo, v5, v16
	v_dual_cndmask_b32 v7, v7, v13 :: v_dual_cndmask_b32 v6, v6, v12
	v_dual_cndmask_b32 v9, v15, v9 :: v_dual_cndmask_b32 v8, v14, v8
	s_delay_alu instid0(VALU_DEP_1) | instskip(SKIP_1) | instid1(SALU_CYCLE_1)
	v_cmp_ge_i64_e32 vcc_lo, v[8:9], v[6:7]
	s_or_b32 s0, vcc_lo, s0
	s_and_not1_b32 exec_lo, exec_lo, s0
	s_cbranch_execz .LBB9_2
.LBB9_24:                               ;   Parent Loop BB9_4 Depth=1
                                        ; =>  This Inner Loop Header: Depth=2
	s_delay_alu instid0(VALU_DEP_1) | instskip(SKIP_1) | instid1(VALU_DEP_1)
	v_sub_nc_u64_e32 v[12:13], v[6:7], v[8:9]
	s_and_not1_b32 vcc_lo, exec_lo, s1
	v_lshrrev_b64 v[12:13], 1, v[12:13]
	s_delay_alu instid0(VALU_DEP_1)
	v_add_nc_u64_e32 v[12:13], v[12:13], v[8:9]
	s_cbranch_vccnz .LBB9_26
; %bb.25:                               ;   in Loop: Header=BB9_24 Depth=2
	s_delay_alu instid0(VALU_DEP_1)
	v_lshl_add_u64 v[14:15], v[12:13], 3, s[10:11]
	global_load_b64 v[14:15], v[14:15], off
	s_wait_loadcnt 0x0
	s_wait_xcnt 0x0
	v_add_nc_u64_e32 v[14:15], v[10:11], v[14:15]
	s_cbranch_execnz .LBB9_23
	s_branch .LBB9_27
.LBB9_26:                               ;   in Loop: Header=BB9_24 Depth=2
                                        ; implicit-def: $vgpr14_vgpr15
.LBB9_27:                               ;   in Loop: Header=BB9_24 Depth=2
	s_delay_alu instid0(VALU_DEP_1)
	v_add_nc_u64_e32 v[14:15], s[8:9], v[12:13]
	s_branch .LBB9_23
.LBB9_28:
	s_endpgm
	.section	.rodata,"a",@progbits
	.p2align	6, 0x0
	.amdhsa_kernel _ZN2at6native12_GLOBAL__N_124searchsorted_cuda_kernelIhiEEvPT0_PKT_S7_PKllllbb
		.amdhsa_group_segment_fixed_size 0
		.amdhsa_private_segment_fixed_size 0
		.amdhsa_kernarg_size 320
		.amdhsa_user_sgpr_count 2
		.amdhsa_user_sgpr_dispatch_ptr 0
		.amdhsa_user_sgpr_queue_ptr 0
		.amdhsa_user_sgpr_kernarg_segment_ptr 1
		.amdhsa_user_sgpr_dispatch_id 0
		.amdhsa_user_sgpr_kernarg_preload_length 0
		.amdhsa_user_sgpr_kernarg_preload_offset 0
		.amdhsa_user_sgpr_private_segment_size 0
		.amdhsa_wavefront_size32 1
		.amdhsa_uses_dynamic_stack 0
		.amdhsa_enable_private_segment 0
		.amdhsa_system_sgpr_workgroup_id_x 1
		.amdhsa_system_sgpr_workgroup_id_y 0
		.amdhsa_system_sgpr_workgroup_id_z 0
		.amdhsa_system_sgpr_workgroup_info 0
		.amdhsa_system_vgpr_workitem_id 0
		.amdhsa_next_free_vgpr 22
		.amdhsa_next_free_sgpr 42
		.amdhsa_named_barrier_count 0
		.amdhsa_reserve_vcc 1
		.amdhsa_float_round_mode_32 0
		.amdhsa_float_round_mode_16_64 0
		.amdhsa_float_denorm_mode_32 3
		.amdhsa_float_denorm_mode_16_64 3
		.amdhsa_fp16_overflow 0
		.amdhsa_memory_ordered 1
		.amdhsa_forward_progress 1
		.amdhsa_inst_pref_size 12
		.amdhsa_round_robin_scheduling 0
		.amdhsa_exception_fp_ieee_invalid_op 0
		.amdhsa_exception_fp_denorm_src 0
		.amdhsa_exception_fp_ieee_div_zero 0
		.amdhsa_exception_fp_ieee_overflow 0
		.amdhsa_exception_fp_ieee_underflow 0
		.amdhsa_exception_fp_ieee_inexact 0
		.amdhsa_exception_int_div_zero 0
	.end_amdhsa_kernel
	.section	.text._ZN2at6native12_GLOBAL__N_124searchsorted_cuda_kernelIhiEEvPT0_PKT_S7_PKllllbb,"axG",@progbits,_ZN2at6native12_GLOBAL__N_124searchsorted_cuda_kernelIhiEEvPT0_PKT_S7_PKllllbb,comdat
.Lfunc_end9:
	.size	_ZN2at6native12_GLOBAL__N_124searchsorted_cuda_kernelIhiEEvPT0_PKT_S7_PKllllbb, .Lfunc_end9-_ZN2at6native12_GLOBAL__N_124searchsorted_cuda_kernelIhiEEvPT0_PKT_S7_PKllllbb
                                        ; -- End function
	.set _ZN2at6native12_GLOBAL__N_124searchsorted_cuda_kernelIhiEEvPT0_PKT_S7_PKllllbb.num_vgpr, 22
	.set _ZN2at6native12_GLOBAL__N_124searchsorted_cuda_kernelIhiEEvPT0_PKT_S7_PKllllbb.num_agpr, 0
	.set _ZN2at6native12_GLOBAL__N_124searchsorted_cuda_kernelIhiEEvPT0_PKT_S7_PKllllbb.numbered_sgpr, 42
	.set _ZN2at6native12_GLOBAL__N_124searchsorted_cuda_kernelIhiEEvPT0_PKT_S7_PKllllbb.num_named_barrier, 0
	.set _ZN2at6native12_GLOBAL__N_124searchsorted_cuda_kernelIhiEEvPT0_PKT_S7_PKllllbb.private_seg_size, 0
	.set _ZN2at6native12_GLOBAL__N_124searchsorted_cuda_kernelIhiEEvPT0_PKT_S7_PKllllbb.uses_vcc, 1
	.set _ZN2at6native12_GLOBAL__N_124searchsorted_cuda_kernelIhiEEvPT0_PKT_S7_PKllllbb.uses_flat_scratch, 0
	.set _ZN2at6native12_GLOBAL__N_124searchsorted_cuda_kernelIhiEEvPT0_PKT_S7_PKllllbb.has_dyn_sized_stack, 0
	.set _ZN2at6native12_GLOBAL__N_124searchsorted_cuda_kernelIhiEEvPT0_PKT_S7_PKllllbb.has_recursion, 0
	.set _ZN2at6native12_GLOBAL__N_124searchsorted_cuda_kernelIhiEEvPT0_PKT_S7_PKllllbb.has_indirect_call, 0
	.section	.AMDGPU.csdata,"",@progbits
; Kernel info:
; codeLenInByte = 1508
; TotalNumSgprs: 44
; NumVgprs: 22
; ScratchSize: 0
; MemoryBound: 0
; FloatMode: 240
; IeeeMode: 1
; LDSByteSize: 0 bytes/workgroup (compile time only)
; SGPRBlocks: 0
; VGPRBlocks: 1
; NumSGPRsForWavesPerEU: 44
; NumVGPRsForWavesPerEU: 22
; NamedBarCnt: 0
; Occupancy: 16
; WaveLimiterHint : 0
; COMPUTE_PGM_RSRC2:SCRATCH_EN: 0
; COMPUTE_PGM_RSRC2:USER_SGPR: 2
; COMPUTE_PGM_RSRC2:TRAP_HANDLER: 0
; COMPUTE_PGM_RSRC2:TGID_X_EN: 1
; COMPUTE_PGM_RSRC2:TGID_Y_EN: 0
; COMPUTE_PGM_RSRC2:TGID_Z_EN: 0
; COMPUTE_PGM_RSRC2:TIDIG_COMP_CNT: 0
	.section	.text._ZN2at6native12_GLOBAL__N_124searchsorted_cuda_kernelIaiEEvPT0_PKT_S7_PKllllbb,"axG",@progbits,_ZN2at6native12_GLOBAL__N_124searchsorted_cuda_kernelIaiEEvPT0_PKT_S7_PKllllbb,comdat
	.globl	_ZN2at6native12_GLOBAL__N_124searchsorted_cuda_kernelIaiEEvPT0_PKT_S7_PKllllbb ; -- Begin function _ZN2at6native12_GLOBAL__N_124searchsorted_cuda_kernelIaiEEvPT0_PKT_S7_PKllllbb
	.p2align	8
	.type	_ZN2at6native12_GLOBAL__N_124searchsorted_cuda_kernelIaiEEvPT0_PKT_S7_PKllllbb,@function
_ZN2at6native12_GLOBAL__N_124searchsorted_cuda_kernelIaiEEvPT0_PKT_S7_PKllllbb: ; @_ZN2at6native12_GLOBAL__N_124searchsorted_cuda_kernelIaiEEvPT0_PKT_S7_PKllllbb
; %bb.0:
	s_clause 0x1
	s_load_b32 s2, s[0:1], 0x4c
	s_load_b128 s[12:15], s[0:1], 0x30
	s_bfe_u32 s3, ttmp6, 0x4000c
	v_mov_b32_e32 v2, 0
	s_add_co_i32 s3, s3, 1
	s_and_b32 s4, ttmp6, 15
	s_mul_i32 s3, ttmp9, s3
	s_getreg_b32 s5, hwreg(HW_REG_IB_STS2, 6, 4)
	v_mov_b32_e32 v1, v2
	s_add_co_i32 s4, s4, s3
	s_wait_kmcnt 0x0
	s_and_b32 s2, s2, 0xffff
	s_cmp_eq_u32 s5, 0
	s_cselect_b32 s3, ttmp9, s4
	s_mov_b32 s4, exec_lo
	v_mad_nc_u64_u32 v[0:1], s2, s3, v[0:1]
	s_mov_b32 s3, 0
	s_delay_alu instid0(VALU_DEP_1)
	v_cmpx_gt_i64_e64 s[12:13], v[0:1]
	s_cbranch_execz .LBB10_28
; %bb.1:
	s_clause 0x2
	s_load_b128 s[16:19], s[0:1], 0x20
	s_load_b32 s14, s[0:1], 0x38
	s_load_b256 s[4:11], s[0:1], 0x0
	s_mov_b32 s21, s3
	s_mov_b32 s29, 0
	s_wait_kmcnt 0x0
	v_cvt_f32_u32_e32 v3, s16
	s_bitcmp1_b32 s14, 0
	v_cmp_gt_i64_e64 s28, s[18:19], 0
	s_cselect_b32 s15, -1, 0
	v_rcp_iflag_f32_e32 v3, v3
	s_xor_b32 s26, s15, -1
	s_bitcmp1_b32 s14, 8
	s_cselect_b32 s14, -1, 0
	v_cndmask_b32_e64 v18, 0, 1, s28
	s_xor_b32 s27, s14, -1
	s_delay_alu instid0(TRANS32_DEP_1)
	v_mul_f32_e32 v3, 0x4f7ffffe, v3
	s_cmp_lg_u64 s[10:11], 0
	s_add_nc_u64 s[14:15], s[0:1], 64
	s_cselect_b32 s1, -1, 0
	s_sub_co_i32 s0, 0, s16
	v_cvt_u32_f32_e32 v3, v3
	s_load_b32 s20, s[14:15], 0x0
	s_wait_xcnt 0x0
	s_mov_b64 s[14:15], 0xffffffff
	s_ashr_i32 s22, s17, 31
	v_mul_lo_u32 v4, s0, v3
	s_delay_alu instid0(VALU_DEP_1) | instskip(SKIP_2) | instid1(VALU_DEP_1)
	v_mul_hi_u32 v4, v3, v4
	s_wait_kmcnt 0x0
	s_mul_i32 s20, s20, s2
	v_add_nc_u32_e32 v19, v3, v4
	s_branch .LBB10_4
.LBB10_2:                               ;   in Loop: Header=BB10_4 Depth=1
	s_or_b32 exec_lo, exec_lo, s0
.LBB10_3:                               ;   in Loop: Header=BB10_4 Depth=1
	v_lshl_add_u64 v[6:7], v[0:1], 2, s[4:5]
	v_add_nc_u64_e32 v[0:1], s[20:21], v[0:1]
	s_wait_loadcnt 0x0
	s_delay_alu instid0(VALU_DEP_3)
	v_sub_nc_u32_e32 v3, v8, v4
	global_store_b32 v[6:7], v3, off
	v_cmp_le_i64_e32 vcc_lo, s[12:13], v[0:1]
	s_or_b32 s29, vcc_lo, s29
	s_wait_xcnt 0x0
	s_and_not1_b32 exec_lo, exec_lo, s29
	s_cbranch_execz .LBB10_28
.LBB10_4:                               ; =>This Loop Header: Depth=1
                                        ;     Child Loop BB10_14 Depth 2
                                        ;     Child Loop BB10_24 Depth 2
	v_mov_b64_e32 v[4:5], 0
	s_and_not1_b32 vcc_lo, exec_lo, s27
	s_cbranch_vccnz .LBB10_10
; %bb.5:                                ;   in Loop: Header=BB10_4 Depth=1
	v_or_b32_e32 v3, s17, v1
                                        ; implicit-def: $vgpr4_vgpr5
	s_mov_b32 s0, exec_lo
	s_delay_alu instid0(VALU_DEP_1)
	v_cmpx_ne_u64_e32 0, v[2:3]
	s_xor_b32 s30, exec_lo, s0
	s_cbranch_execz .LBB10_7
; %bb.6:                                ;   in Loop: Header=BB10_4 Depth=1
	s_mov_b32 s23, s22
	v_dual_mov_b32 v9, v2 :: v_dual_ashrrev_i32 v4, 31, v1
	s_add_nc_u64 s[24:25], s[16:17], s[22:23]
	s_delay_alu instid0(SALU_CYCLE_1) | instskip(NEXT) | instid1(VALU_DEP_1)
	s_xor_b64 s[24:25], s[24:25], s[22:23]
	v_mov_b32_e32 v5, v4
	s_cvt_f32_u32 s0, s24
	s_cvt_f32_u32 s2, s25
	s_sub_nc_u64 s[36:37], 0, s[24:25]
	s_delay_alu instid0(VALU_DEP_1) | instskip(NEXT) | instid1(SALU_CYCLE_1)
	v_add_nc_u64_e32 v[6:7], v[0:1], v[4:5]
	s_fmamk_f32 s0, s2, 0x4f800000, s0
	v_mov_b32_e32 v13, v2
	s_delay_alu instid0(SALU_CYCLE_2) | instskip(NEXT) | instid1(VALU_DEP_2)
	v_s_rcp_f32 s0, s0
	v_xor_b32_e32 v8, v6, v4
	s_delay_alu instid0(VALU_DEP_3) | instskip(SKIP_1) | instid1(TRANS32_DEP_1)
	v_dual_mov_b32 v17, v2 :: v_dual_bitop2_b32 v12, v7, v4 bitop3:0x14
	v_xor_b32_e32 v4, s22, v4
	s_mul_f32 s0, s0, 0x5f7ffffc
	s_delay_alu instid0(SALU_CYCLE_3) | instskip(NEXT) | instid1(SALU_CYCLE_3)
	s_mul_f32 s2, s0, 0x2f800000
	s_trunc_f32 s2, s2
	s_delay_alu instid0(SALU_CYCLE_3) | instskip(SKIP_1) | instid1(SALU_CYCLE_2)
	s_fmamk_f32 s0, s2, 0xcf800000, s0
	s_cvt_u32_f32 s35, s2
	s_cvt_u32_f32 s34, s0
	s_delay_alu instid0(SALU_CYCLE_3) | instskip(NEXT) | instid1(SALU_CYCLE_1)
	s_mul_u64 s[38:39], s[36:37], s[34:35]
	s_mul_hi_u32 s41, s34, s39
	s_mul_i32 s40, s34, s39
	s_mul_hi_u32 s2, s34, s38
	s_mul_i32 s23, s35, s38
	s_add_nc_u64 s[40:41], s[2:3], s[40:41]
	s_mul_hi_u32 s0, s35, s38
	s_mul_hi_u32 s31, s35, s39
	s_add_co_u32 s2, s40, s23
	s_add_co_ci_u32 s2, s41, s0
	s_mul_i32 s38, s35, s39
	s_add_co_ci_u32 s39, s31, 0
	s_delay_alu instid0(SALU_CYCLE_1) | instskip(NEXT) | instid1(SALU_CYCLE_1)
	s_add_nc_u64 s[38:39], s[2:3], s[38:39]
	s_add_co_u32 s34, s34, s38
	s_cselect_b32 s0, -1, 0
	s_delay_alu instid0(SALU_CYCLE_1) | instskip(SKIP_1) | instid1(SALU_CYCLE_1)
	s_cmp_lg_u32 s0, 0
	s_add_co_ci_u32 s35, s35, s39
	s_mul_u64 s[36:37], s[36:37], s[34:35]
	s_delay_alu instid0(SALU_CYCLE_1)
	s_mul_hi_u32 s39, s34, s37
	s_mul_i32 s38, s34, s37
	s_mul_hi_u32 s2, s34, s36
	s_mul_i32 s23, s35, s36
	s_add_nc_u64 s[38:39], s[2:3], s[38:39]
	s_mul_hi_u32 s0, s35, s36
	s_mul_hi_u32 s31, s35, s37
	s_add_co_u32 s2, s38, s23
	s_add_co_ci_u32 s2, s39, s0
	s_mul_i32 s36, s35, s37
	s_add_co_ci_u32 s37, s31, 0
	s_delay_alu instid0(SALU_CYCLE_1) | instskip(NEXT) | instid1(SALU_CYCLE_1)
	s_add_nc_u64 s[36:37], s[2:3], s[36:37]
	s_add_co_u32 s0, s34, s36
	s_cselect_b32 s2, -1, 0
	v_mul_hi_u32 v16, v8, s0
	s_cmp_lg_u32 s2, 0
	s_add_co_ci_u32 s2, s35, s37
	s_and_b64 s[34:35], s[0:1], s[14:15]
	v_mul_u64_e32 v[10:11], s[2:3], v[8:9]
	v_mul_u64_e32 v[6:7], s[34:35], v[12:13]
	v_mul_u64_e32 v[14:15], s[2:3], v[12:13]
	s_delay_alu instid0(VALU_DEP_3) | instskip(NEXT) | instid1(VALU_DEP_1)
	v_add_nc_u64_e32 v[10:11], v[16:17], v[10:11]
	v_add_co_u32 v3, vcc_lo, v10, v6
	s_delay_alu instid0(VALU_DEP_2) | instskip(NEXT) | instid1(VALU_DEP_4)
	v_add_co_ci_u32_e32 v16, vcc_lo, v11, v7, vcc_lo
	v_add_co_ci_u32_e32 v15, vcc_lo, 0, v15, vcc_lo
	s_delay_alu instid0(VALU_DEP_1) | instskip(NEXT) | instid1(VALU_DEP_1)
	v_add_nc_u64_e32 v[6:7], v[16:17], v[14:15]
	v_mul_u64_e32 v[10:11], s[24:25], v[6:7]
	s_delay_alu instid0(VALU_DEP_1) | instskip(NEXT) | instid1(VALU_DEP_2)
	v_sub_nc_u32_e32 v3, v12, v11
	v_sub_co_u32 v5, vcc_lo, v8, v10
	s_delay_alu instid0(VALU_DEP_1) | instskip(NEXT) | instid1(VALU_DEP_3)
	v_sub_co_ci_u32_e64 v12, null, v12, v11, vcc_lo
	v_subrev_co_ci_u32_e64 v3, null, s25, v3, vcc_lo
	s_delay_alu instid0(VALU_DEP_3) | instskip(SKIP_1) | instid1(VALU_DEP_3)
	v_sub_co_u32 v8, s0, v5, s24
	v_add_nc_u64_e32 v[10:11], 1, v[6:7]
	v_subrev_co_ci_u32_e64 v3, null, 0, v3, s0
	s_delay_alu instid0(VALU_DEP_3) | instskip(SKIP_1) | instid1(VALU_DEP_3)
	v_cmp_le_u32_e32 vcc_lo, s24, v8
	v_cndmask_b32_e64 v8, 0, -1, vcc_lo
	v_cmp_le_u32_e32 vcc_lo, s25, v3
	v_cndmask_b32_e64 v9, 0, -1, vcc_lo
	;; [unrolled: 2-line block ×4, first 2 shown]
	v_cmp_eq_u32_e32 vcc_lo, s25, v3
	v_cndmask_b32_e32 v3, v9, v8, vcc_lo
	v_cmp_eq_u32_e32 vcc_lo, s25, v12
	v_add_nc_u64_e32 v[8:9], 2, v[6:7]
	v_cndmask_b32_e32 v5, v13, v5, vcc_lo
	s_delay_alu instid0(VALU_DEP_4) | instskip(NEXT) | instid1(VALU_DEP_2)
	v_cmp_ne_u32_e32 vcc_lo, 0, v3
	v_cmp_ne_u32_e64 s0, 0, v5
	s_delay_alu instid0(VALU_DEP_4) | instskip(NEXT) | instid1(VALU_DEP_1)
	v_dual_cndmask_b32 v3, v11, v9, vcc_lo :: v_dual_cndmask_b32 v5, v10, v8, vcc_lo
	v_dual_cndmask_b32 v6, v6, v5, s0 :: v_dual_mov_b32 v5, v4
	s_delay_alu instid0(VALU_DEP_1) | instskip(NEXT) | instid1(VALU_DEP_1)
	v_dual_cndmask_b32 v3, v7, v3, s0 :: v_dual_bitop2_b32 v6, v6, v4 bitop3:0x14
	v_xor_b32_e32 v7, v3, v4
	s_delay_alu instid0(VALU_DEP_1)
	v_sub_nc_u64_e32 v[4:5], v[6:7], v[4:5]
.LBB10_7:                               ;   in Loop: Header=BB10_4 Depth=1
	s_and_not1_saveexec_b32 s0, s30
	s_cbranch_execz .LBB10_9
; %bb.8:                                ;   in Loop: Header=BB10_4 Depth=1
	v_mul_hi_u32 v3, v0, v19
	s_delay_alu instid0(VALU_DEP_1) | instskip(NEXT) | instid1(VALU_DEP_1)
	v_mul_lo_u32 v4, v3, s16
	v_dual_add_nc_u32 v5, 1, v3 :: v_dual_sub_nc_u32 v4, v0, v4
	s_delay_alu instid0(VALU_DEP_1) | instskip(SKIP_1) | instid1(VALU_DEP_2)
	v_subrev_nc_u32_e32 v6, s16, v4
	v_cmp_le_u32_e32 vcc_lo, s16, v4
	v_dual_cndmask_b32 v4, v4, v6 :: v_dual_cndmask_b32 v3, v3, v5
	s_delay_alu instid0(VALU_DEP_1) | instskip(NEXT) | instid1(VALU_DEP_2)
	v_cmp_le_u32_e32 vcc_lo, s16, v4
	v_add_nc_u32_e32 v5, 1, v3
	s_delay_alu instid0(VALU_DEP_1)
	v_dual_cndmask_b32 v4, v3, v5 :: v_dual_mov_b32 v5, v2
.LBB10_9:                               ;   in Loop: Header=BB10_4 Depth=1
	s_or_b32 exec_lo, exec_lo, s0
	s_delay_alu instid0(VALU_DEP_1)
	v_mul_u64_e32 v[4:5], s[18:19], v[4:5]
.LBB10_10:                              ;   in Loop: Header=BB10_4 Depth=1
	v_add_nc_u64_e32 v[6:7], s[6:7], v[0:1]
	v_cmp_ne_u32_e64 s0, 1, v18
	s_and_not1_b32 vcc_lo, exec_lo, s26
	s_mov_b32 s2, -1
                                        ; implicit-def: $vgpr8_vgpr9
	global_load_i8 v3, v[6:7], off
	s_wait_xcnt 0x0
	v_add_nc_u64_e32 v[6:7], s[18:19], v[4:5]
	s_cbranch_vccnz .LBB10_20
; %bb.11:                               ;   in Loop: Header=BB10_4 Depth=1
	v_mov_b64_e32 v[8:9], v[4:5]
	s_and_b32 vcc_lo, exec_lo, s0
	s_cbranch_vccnz .LBB10_19
; %bb.12:                               ;   in Loop: Header=BB10_4 Depth=1
	v_add_nc_u64_e32 v[10:11], s[8:9], v[4:5]
	v_mov_b64_e32 v[8:9], v[4:5]
	v_mov_b64_e32 v[12:13], v[6:7]
	s_mov_b32 s0, 0
	s_branch .LBB10_14
.LBB10_13:                              ;   in Loop: Header=BB10_14 Depth=2
	global_load_i8 v20, v[16:17], off
	s_wait_xcnt 0x0
	v_add_nc_u64_e32 v[16:17], 1, v[14:15]
	s_wait_loadcnt 0x0
	v_cmp_lt_i16_e32 vcc_lo, v20, v3
	v_dual_cndmask_b32 v13, v15, v13 :: v_dual_cndmask_b32 v12, v14, v12
	s_delay_alu instid0(VALU_DEP_3) | instskip(NEXT) | instid1(VALU_DEP_1)
	v_dual_cndmask_b32 v9, v9, v17 :: v_dual_cndmask_b32 v8, v8, v16
	v_cmp_ge_i64_e32 vcc_lo, v[8:9], v[12:13]
	s_or_b32 s0, vcc_lo, s0
	s_delay_alu instid0(SALU_CYCLE_1)
	s_and_not1_b32 exec_lo, exec_lo, s0
	s_cbranch_execz .LBB10_18
.LBB10_14:                              ;   Parent Loop BB10_4 Depth=1
                                        ; =>  This Inner Loop Header: Depth=2
	s_delay_alu instid0(VALU_DEP_1) | instskip(SKIP_1) | instid1(VALU_DEP_1)
	v_sub_nc_u64_e32 v[14:15], v[12:13], v[8:9]
	s_and_not1_b32 vcc_lo, exec_lo, s1
	v_lshrrev_b64 v[14:15], 1, v[14:15]
	s_delay_alu instid0(VALU_DEP_1)
	v_add_nc_u64_e32 v[14:15], v[14:15], v[8:9]
	s_cbranch_vccnz .LBB10_16
; %bb.15:                               ;   in Loop: Header=BB10_14 Depth=2
	s_delay_alu instid0(VALU_DEP_1)
	v_lshl_add_u64 v[16:17], v[14:15], 3, s[10:11]
	global_load_b64 v[16:17], v[16:17], off
	s_wait_loadcnt 0x0
	s_wait_xcnt 0x0
	v_add_nc_u64_e32 v[16:17], v[10:11], v[16:17]
	s_cbranch_execnz .LBB10_13
	s_branch .LBB10_17
.LBB10_16:                              ;   in Loop: Header=BB10_14 Depth=2
                                        ; implicit-def: $vgpr16_vgpr17
.LBB10_17:                              ;   in Loop: Header=BB10_14 Depth=2
	s_delay_alu instid0(VALU_DEP_1)
	v_add_nc_u64_e32 v[16:17], s[8:9], v[14:15]
	s_branch .LBB10_13
.LBB10_18:                              ;   in Loop: Header=BB10_4 Depth=1
	s_or_b32 exec_lo, exec_lo, s0
.LBB10_19:                              ;   in Loop: Header=BB10_4 Depth=1
	s_mov_b32 s2, 0
.LBB10_20:                              ;   in Loop: Header=BB10_4 Depth=1
	s_delay_alu instid0(SALU_CYCLE_1)
	s_and_not1_b32 vcc_lo, exec_lo, s2
	s_cbranch_vccnz .LBB10_3
; %bb.21:                               ;   in Loop: Header=BB10_4 Depth=1
	v_mov_b64_e32 v[8:9], v[4:5]
	s_and_not1_b32 vcc_lo, exec_lo, s28
	s_cbranch_vccnz .LBB10_3
; %bb.22:                               ;   in Loop: Header=BB10_4 Depth=1
	v_add_nc_u64_e32 v[10:11], s[8:9], v[4:5]
	v_mov_b64_e32 v[8:9], v[4:5]
	s_mov_b32 s0, 0
	s_branch .LBB10_24
.LBB10_23:                              ;   in Loop: Header=BB10_24 Depth=2
	global_load_i8 v5, v[14:15], off
	s_wait_xcnt 0x0
	v_add_nc_u64_e32 v[14:15], 1, v[12:13]
	s_wait_loadcnt 0x0
	v_cmp_gt_i16_e32 vcc_lo, v5, v3
	v_dual_cndmask_b32 v7, v7, v13 :: v_dual_cndmask_b32 v6, v6, v12
	s_delay_alu instid0(VALU_DEP_3) | instskip(NEXT) | instid1(VALU_DEP_1)
	v_dual_cndmask_b32 v9, v15, v9 :: v_dual_cndmask_b32 v8, v14, v8
	v_cmp_ge_i64_e32 vcc_lo, v[8:9], v[6:7]
	s_or_b32 s0, vcc_lo, s0
	s_delay_alu instid0(SALU_CYCLE_1)
	s_and_not1_b32 exec_lo, exec_lo, s0
	s_cbranch_execz .LBB10_2
.LBB10_24:                              ;   Parent Loop BB10_4 Depth=1
                                        ; =>  This Inner Loop Header: Depth=2
	s_delay_alu instid0(VALU_DEP_1) | instskip(SKIP_1) | instid1(VALU_DEP_1)
	v_sub_nc_u64_e32 v[12:13], v[6:7], v[8:9]
	s_and_not1_b32 vcc_lo, exec_lo, s1
	v_lshrrev_b64 v[12:13], 1, v[12:13]
	s_delay_alu instid0(VALU_DEP_1)
	v_add_nc_u64_e32 v[12:13], v[12:13], v[8:9]
	s_cbranch_vccnz .LBB10_26
; %bb.25:                               ;   in Loop: Header=BB10_24 Depth=2
	s_delay_alu instid0(VALU_DEP_1)
	v_lshl_add_u64 v[14:15], v[12:13], 3, s[10:11]
	global_load_b64 v[14:15], v[14:15], off
	s_wait_loadcnt 0x0
	s_wait_xcnt 0x0
	v_add_nc_u64_e32 v[14:15], v[10:11], v[14:15]
	s_cbranch_execnz .LBB10_23
	s_branch .LBB10_27
.LBB10_26:                              ;   in Loop: Header=BB10_24 Depth=2
                                        ; implicit-def: $vgpr14_vgpr15
.LBB10_27:                              ;   in Loop: Header=BB10_24 Depth=2
	s_delay_alu instid0(VALU_DEP_1)
	v_add_nc_u64_e32 v[14:15], s[8:9], v[12:13]
	s_branch .LBB10_23
.LBB10_28:
	s_endpgm
	.section	.rodata,"a",@progbits
	.p2align	6, 0x0
	.amdhsa_kernel _ZN2at6native12_GLOBAL__N_124searchsorted_cuda_kernelIaiEEvPT0_PKT_S7_PKllllbb
		.amdhsa_group_segment_fixed_size 0
		.amdhsa_private_segment_fixed_size 0
		.amdhsa_kernarg_size 320
		.amdhsa_user_sgpr_count 2
		.amdhsa_user_sgpr_dispatch_ptr 0
		.amdhsa_user_sgpr_queue_ptr 0
		.amdhsa_user_sgpr_kernarg_segment_ptr 1
		.amdhsa_user_sgpr_dispatch_id 0
		.amdhsa_user_sgpr_kernarg_preload_length 0
		.amdhsa_user_sgpr_kernarg_preload_offset 0
		.amdhsa_user_sgpr_private_segment_size 0
		.amdhsa_wavefront_size32 1
		.amdhsa_uses_dynamic_stack 0
		.amdhsa_enable_private_segment 0
		.amdhsa_system_sgpr_workgroup_id_x 1
		.amdhsa_system_sgpr_workgroup_id_y 0
		.amdhsa_system_sgpr_workgroup_id_z 0
		.amdhsa_system_sgpr_workgroup_info 0
		.amdhsa_system_vgpr_workitem_id 0
		.amdhsa_next_free_vgpr 21
		.amdhsa_next_free_sgpr 42
		.amdhsa_named_barrier_count 0
		.amdhsa_reserve_vcc 1
		.amdhsa_float_round_mode_32 0
		.amdhsa_float_round_mode_16_64 0
		.amdhsa_float_denorm_mode_32 3
		.amdhsa_float_denorm_mode_16_64 3
		.amdhsa_fp16_overflow 0
		.amdhsa_memory_ordered 1
		.amdhsa_forward_progress 1
		.amdhsa_inst_pref_size 12
		.amdhsa_round_robin_scheduling 0
		.amdhsa_exception_fp_ieee_invalid_op 0
		.amdhsa_exception_fp_denorm_src 0
		.amdhsa_exception_fp_ieee_div_zero 0
		.amdhsa_exception_fp_ieee_overflow 0
		.amdhsa_exception_fp_ieee_underflow 0
		.amdhsa_exception_fp_ieee_inexact 0
		.amdhsa_exception_int_div_zero 0
	.end_amdhsa_kernel
	.section	.text._ZN2at6native12_GLOBAL__N_124searchsorted_cuda_kernelIaiEEvPT0_PKT_S7_PKllllbb,"axG",@progbits,_ZN2at6native12_GLOBAL__N_124searchsorted_cuda_kernelIaiEEvPT0_PKT_S7_PKllllbb,comdat
.Lfunc_end10:
	.size	_ZN2at6native12_GLOBAL__N_124searchsorted_cuda_kernelIaiEEvPT0_PKT_S7_PKllllbb, .Lfunc_end10-_ZN2at6native12_GLOBAL__N_124searchsorted_cuda_kernelIaiEEvPT0_PKT_S7_PKllllbb
                                        ; -- End function
	.set _ZN2at6native12_GLOBAL__N_124searchsorted_cuda_kernelIaiEEvPT0_PKT_S7_PKllllbb.num_vgpr, 21
	.set _ZN2at6native12_GLOBAL__N_124searchsorted_cuda_kernelIaiEEvPT0_PKT_S7_PKllllbb.num_agpr, 0
	.set _ZN2at6native12_GLOBAL__N_124searchsorted_cuda_kernelIaiEEvPT0_PKT_S7_PKllllbb.numbered_sgpr, 42
	.set _ZN2at6native12_GLOBAL__N_124searchsorted_cuda_kernelIaiEEvPT0_PKT_S7_PKllllbb.num_named_barrier, 0
	.set _ZN2at6native12_GLOBAL__N_124searchsorted_cuda_kernelIaiEEvPT0_PKT_S7_PKllllbb.private_seg_size, 0
	.set _ZN2at6native12_GLOBAL__N_124searchsorted_cuda_kernelIaiEEvPT0_PKT_S7_PKllllbb.uses_vcc, 1
	.set _ZN2at6native12_GLOBAL__N_124searchsorted_cuda_kernelIaiEEvPT0_PKT_S7_PKllllbb.uses_flat_scratch, 0
	.set _ZN2at6native12_GLOBAL__N_124searchsorted_cuda_kernelIaiEEvPT0_PKT_S7_PKllllbb.has_dyn_sized_stack, 0
	.set _ZN2at6native12_GLOBAL__N_124searchsorted_cuda_kernelIaiEEvPT0_PKT_S7_PKllllbb.has_recursion, 0
	.set _ZN2at6native12_GLOBAL__N_124searchsorted_cuda_kernelIaiEEvPT0_PKT_S7_PKllllbb.has_indirect_call, 0
	.section	.AMDGPU.csdata,"",@progbits
; Kernel info:
; codeLenInByte = 1484
; TotalNumSgprs: 44
; NumVgprs: 21
; ScratchSize: 0
; MemoryBound: 0
; FloatMode: 240
; IeeeMode: 1
; LDSByteSize: 0 bytes/workgroup (compile time only)
; SGPRBlocks: 0
; VGPRBlocks: 1
; NumSGPRsForWavesPerEU: 44
; NumVGPRsForWavesPerEU: 21
; NamedBarCnt: 0
; Occupancy: 16
; WaveLimiterHint : 0
; COMPUTE_PGM_RSRC2:SCRATCH_EN: 0
; COMPUTE_PGM_RSRC2:USER_SGPR: 2
; COMPUTE_PGM_RSRC2:TRAP_HANDLER: 0
; COMPUTE_PGM_RSRC2:TGID_X_EN: 1
; COMPUTE_PGM_RSRC2:TGID_Y_EN: 0
; COMPUTE_PGM_RSRC2:TGID_Z_EN: 0
; COMPUTE_PGM_RSRC2:TIDIG_COMP_CNT: 0
	.section	.text._ZN2at6native12_GLOBAL__N_124searchsorted_cuda_kernelIiiEEvPT0_PKT_S7_PKllllbb,"axG",@progbits,_ZN2at6native12_GLOBAL__N_124searchsorted_cuda_kernelIiiEEvPT0_PKT_S7_PKllllbb,comdat
	.globl	_ZN2at6native12_GLOBAL__N_124searchsorted_cuda_kernelIiiEEvPT0_PKT_S7_PKllllbb ; -- Begin function _ZN2at6native12_GLOBAL__N_124searchsorted_cuda_kernelIiiEEvPT0_PKT_S7_PKllllbb
	.p2align	8
	.type	_ZN2at6native12_GLOBAL__N_124searchsorted_cuda_kernelIiiEEvPT0_PKT_S7_PKllllbb,@function
_ZN2at6native12_GLOBAL__N_124searchsorted_cuda_kernelIiiEEvPT0_PKT_S7_PKllllbb: ; @_ZN2at6native12_GLOBAL__N_124searchsorted_cuda_kernelIiiEEvPT0_PKT_S7_PKllllbb
; %bb.0:
	s_clause 0x1
	s_load_b32 s2, s[0:1], 0x4c
	s_load_b128 s[12:15], s[0:1], 0x30
	s_bfe_u32 s3, ttmp6, 0x4000c
	v_mov_b32_e32 v2, 0
	s_add_co_i32 s3, s3, 1
	s_and_b32 s4, ttmp6, 15
	s_mul_i32 s3, ttmp9, s3
	s_getreg_b32 s5, hwreg(HW_REG_IB_STS2, 6, 4)
	v_mov_b32_e32 v1, v2
	s_add_co_i32 s4, s4, s3
	s_wait_kmcnt 0x0
	s_and_b32 s2, s2, 0xffff
	s_cmp_eq_u32 s5, 0
	s_cselect_b32 s3, ttmp9, s4
	s_mov_b32 s4, exec_lo
	v_mad_nc_u64_u32 v[0:1], s2, s3, v[0:1]
	s_mov_b32 s3, 0
	s_delay_alu instid0(VALU_DEP_1)
	v_cmpx_gt_i64_e64 s[12:13], v[0:1]
	s_cbranch_execz .LBB11_28
; %bb.1:
	s_clause 0x2
	s_load_b128 s[16:19], s[0:1], 0x20
	s_load_b32 s14, s[0:1], 0x38
	s_load_b256 s[4:11], s[0:1], 0x0
	s_mov_b32 s21, s3
	s_mov_b32 s29, 0
	s_wait_kmcnt 0x0
	v_cvt_f32_u32_e32 v3, s16
	s_bitcmp1_b32 s14, 0
	v_cmp_gt_i64_e64 s28, s[18:19], 0
	s_cselect_b32 s15, -1, 0
	v_rcp_iflag_f32_e32 v3, v3
	s_xor_b32 s26, s15, -1
	s_bitcmp1_b32 s14, 8
	s_cselect_b32 s14, -1, 0
	v_cndmask_b32_e64 v18, 0, 1, s28
	s_xor_b32 s27, s14, -1
	s_delay_alu instid0(TRANS32_DEP_1)
	v_mul_f32_e32 v3, 0x4f7ffffe, v3
	s_cmp_lg_u64 s[10:11], 0
	s_add_nc_u64 s[14:15], s[0:1], 64
	s_cselect_b32 s1, -1, 0
	s_sub_co_i32 s0, 0, s16
	v_cvt_u32_f32_e32 v3, v3
	s_load_b32 s20, s[14:15], 0x0
	s_wait_xcnt 0x0
	s_mov_b64 s[14:15], 0xffffffff
	s_ashr_i32 s22, s17, 31
	v_mul_lo_u32 v4, s0, v3
	s_delay_alu instid0(VALU_DEP_1) | instskip(SKIP_2) | instid1(VALU_DEP_1)
	v_mul_hi_u32 v4, v3, v4
	s_wait_kmcnt 0x0
	s_mul_i32 s20, s20, s2
	v_add_nc_u32_e32 v19, v3, v4
	s_branch .LBB11_4
.LBB11_2:                               ;   in Loop: Header=BB11_4 Depth=1
	s_or_b32 exec_lo, exec_lo, s0
.LBB11_3:                               ;   in Loop: Header=BB11_4 Depth=1
	v_lshl_add_u64 v[6:7], v[0:1], 2, s[4:5]
	v_add_nc_u64_e32 v[0:1], s[20:21], v[0:1]
	s_wait_loadcnt 0x0
	s_delay_alu instid0(VALU_DEP_3)
	v_sub_nc_u32_e32 v3, v8, v4
	global_store_b32 v[6:7], v3, off
	v_cmp_le_i64_e32 vcc_lo, s[12:13], v[0:1]
	s_or_b32 s29, vcc_lo, s29
	s_wait_xcnt 0x0
	s_and_not1_b32 exec_lo, exec_lo, s29
	s_cbranch_execz .LBB11_28
.LBB11_4:                               ; =>This Loop Header: Depth=1
                                        ;     Child Loop BB11_14 Depth 2
                                        ;     Child Loop BB11_24 Depth 2
	v_mov_b64_e32 v[4:5], 0
	s_and_not1_b32 vcc_lo, exec_lo, s27
	s_cbranch_vccnz .LBB11_10
; %bb.5:                                ;   in Loop: Header=BB11_4 Depth=1
	v_or_b32_e32 v3, s17, v1
                                        ; implicit-def: $vgpr4_vgpr5
	s_mov_b32 s0, exec_lo
	s_delay_alu instid0(VALU_DEP_1)
	v_cmpx_ne_u64_e32 0, v[2:3]
	s_xor_b32 s30, exec_lo, s0
	s_cbranch_execz .LBB11_7
; %bb.6:                                ;   in Loop: Header=BB11_4 Depth=1
	s_mov_b32 s23, s22
	v_dual_mov_b32 v9, v2 :: v_dual_ashrrev_i32 v4, 31, v1
	s_add_nc_u64 s[24:25], s[16:17], s[22:23]
	s_delay_alu instid0(SALU_CYCLE_1) | instskip(NEXT) | instid1(VALU_DEP_1)
	s_xor_b64 s[24:25], s[24:25], s[22:23]
	v_mov_b32_e32 v5, v4
	s_cvt_f32_u32 s0, s24
	s_cvt_f32_u32 s2, s25
	s_sub_nc_u64 s[36:37], 0, s[24:25]
	s_delay_alu instid0(VALU_DEP_1) | instskip(NEXT) | instid1(SALU_CYCLE_1)
	v_add_nc_u64_e32 v[6:7], v[0:1], v[4:5]
	s_fmamk_f32 s0, s2, 0x4f800000, s0
	v_mov_b32_e32 v13, v2
	s_delay_alu instid0(SALU_CYCLE_2) | instskip(NEXT) | instid1(VALU_DEP_2)
	v_s_rcp_f32 s0, s0
	v_xor_b32_e32 v8, v6, v4
	s_delay_alu instid0(VALU_DEP_3) | instskip(SKIP_1) | instid1(TRANS32_DEP_1)
	v_dual_mov_b32 v17, v2 :: v_dual_bitop2_b32 v12, v7, v4 bitop3:0x14
	v_xor_b32_e32 v4, s22, v4
	s_mul_f32 s0, s0, 0x5f7ffffc
	s_delay_alu instid0(SALU_CYCLE_3) | instskip(NEXT) | instid1(SALU_CYCLE_3)
	s_mul_f32 s2, s0, 0x2f800000
	s_trunc_f32 s2, s2
	s_delay_alu instid0(SALU_CYCLE_3) | instskip(SKIP_1) | instid1(SALU_CYCLE_2)
	s_fmamk_f32 s0, s2, 0xcf800000, s0
	s_cvt_u32_f32 s35, s2
	s_cvt_u32_f32 s34, s0
	s_delay_alu instid0(SALU_CYCLE_3) | instskip(NEXT) | instid1(SALU_CYCLE_1)
	s_mul_u64 s[38:39], s[36:37], s[34:35]
	s_mul_hi_u32 s41, s34, s39
	s_mul_i32 s40, s34, s39
	s_mul_hi_u32 s2, s34, s38
	s_mul_i32 s23, s35, s38
	s_add_nc_u64 s[40:41], s[2:3], s[40:41]
	s_mul_hi_u32 s0, s35, s38
	s_mul_hi_u32 s31, s35, s39
	s_add_co_u32 s2, s40, s23
	s_add_co_ci_u32 s2, s41, s0
	s_mul_i32 s38, s35, s39
	s_add_co_ci_u32 s39, s31, 0
	s_delay_alu instid0(SALU_CYCLE_1) | instskip(NEXT) | instid1(SALU_CYCLE_1)
	s_add_nc_u64 s[38:39], s[2:3], s[38:39]
	s_add_co_u32 s34, s34, s38
	s_cselect_b32 s0, -1, 0
	s_delay_alu instid0(SALU_CYCLE_1) | instskip(SKIP_1) | instid1(SALU_CYCLE_1)
	s_cmp_lg_u32 s0, 0
	s_add_co_ci_u32 s35, s35, s39
	s_mul_u64 s[36:37], s[36:37], s[34:35]
	s_delay_alu instid0(SALU_CYCLE_1)
	s_mul_hi_u32 s39, s34, s37
	s_mul_i32 s38, s34, s37
	s_mul_hi_u32 s2, s34, s36
	s_mul_i32 s23, s35, s36
	s_add_nc_u64 s[38:39], s[2:3], s[38:39]
	s_mul_hi_u32 s0, s35, s36
	s_mul_hi_u32 s31, s35, s37
	s_add_co_u32 s2, s38, s23
	s_add_co_ci_u32 s2, s39, s0
	s_mul_i32 s36, s35, s37
	s_add_co_ci_u32 s37, s31, 0
	s_delay_alu instid0(SALU_CYCLE_1) | instskip(NEXT) | instid1(SALU_CYCLE_1)
	s_add_nc_u64 s[36:37], s[2:3], s[36:37]
	s_add_co_u32 s0, s34, s36
	s_cselect_b32 s2, -1, 0
	v_mul_hi_u32 v16, v8, s0
	s_cmp_lg_u32 s2, 0
	s_add_co_ci_u32 s2, s35, s37
	s_and_b64 s[34:35], s[0:1], s[14:15]
	v_mul_u64_e32 v[10:11], s[2:3], v[8:9]
	v_mul_u64_e32 v[6:7], s[34:35], v[12:13]
	;; [unrolled: 1-line block ×3, first 2 shown]
	s_delay_alu instid0(VALU_DEP_3) | instskip(NEXT) | instid1(VALU_DEP_1)
	v_add_nc_u64_e32 v[10:11], v[16:17], v[10:11]
	v_add_co_u32 v3, vcc_lo, v10, v6
	s_delay_alu instid0(VALU_DEP_2) | instskip(NEXT) | instid1(VALU_DEP_4)
	v_add_co_ci_u32_e32 v16, vcc_lo, v11, v7, vcc_lo
	v_add_co_ci_u32_e32 v15, vcc_lo, 0, v15, vcc_lo
	s_delay_alu instid0(VALU_DEP_1) | instskip(NEXT) | instid1(VALU_DEP_1)
	v_add_nc_u64_e32 v[6:7], v[16:17], v[14:15]
	v_mul_u64_e32 v[10:11], s[24:25], v[6:7]
	s_delay_alu instid0(VALU_DEP_1) | instskip(NEXT) | instid1(VALU_DEP_2)
	v_sub_nc_u32_e32 v3, v12, v11
	v_sub_co_u32 v5, vcc_lo, v8, v10
	s_delay_alu instid0(VALU_DEP_1) | instskip(NEXT) | instid1(VALU_DEP_3)
	v_sub_co_ci_u32_e64 v12, null, v12, v11, vcc_lo
	v_subrev_co_ci_u32_e64 v3, null, s25, v3, vcc_lo
	s_delay_alu instid0(VALU_DEP_3) | instskip(SKIP_1) | instid1(VALU_DEP_3)
	v_sub_co_u32 v8, s0, v5, s24
	v_add_nc_u64_e32 v[10:11], 1, v[6:7]
	v_subrev_co_ci_u32_e64 v3, null, 0, v3, s0
	s_delay_alu instid0(VALU_DEP_3) | instskip(SKIP_1) | instid1(VALU_DEP_3)
	v_cmp_le_u32_e32 vcc_lo, s24, v8
	v_cndmask_b32_e64 v8, 0, -1, vcc_lo
	v_cmp_le_u32_e32 vcc_lo, s25, v3
	v_cndmask_b32_e64 v9, 0, -1, vcc_lo
	;; [unrolled: 2-line block ×4, first 2 shown]
	v_cmp_eq_u32_e32 vcc_lo, s25, v3
	v_cndmask_b32_e32 v3, v9, v8, vcc_lo
	v_cmp_eq_u32_e32 vcc_lo, s25, v12
	v_add_nc_u64_e32 v[8:9], 2, v[6:7]
	v_cndmask_b32_e32 v5, v13, v5, vcc_lo
	s_delay_alu instid0(VALU_DEP_4) | instskip(NEXT) | instid1(VALU_DEP_2)
	v_cmp_ne_u32_e32 vcc_lo, 0, v3
	v_cmp_ne_u32_e64 s0, 0, v5
	s_delay_alu instid0(VALU_DEP_4) | instskip(NEXT) | instid1(VALU_DEP_1)
	v_dual_cndmask_b32 v3, v11, v9, vcc_lo :: v_dual_cndmask_b32 v5, v10, v8, vcc_lo
	v_dual_cndmask_b32 v6, v6, v5, s0 :: v_dual_mov_b32 v5, v4
	s_delay_alu instid0(VALU_DEP_1) | instskip(NEXT) | instid1(VALU_DEP_1)
	v_dual_cndmask_b32 v3, v7, v3, s0 :: v_dual_bitop2_b32 v6, v6, v4 bitop3:0x14
	v_xor_b32_e32 v7, v3, v4
	s_delay_alu instid0(VALU_DEP_1)
	v_sub_nc_u64_e32 v[4:5], v[6:7], v[4:5]
.LBB11_7:                               ;   in Loop: Header=BB11_4 Depth=1
	s_and_not1_saveexec_b32 s0, s30
	s_cbranch_execz .LBB11_9
; %bb.8:                                ;   in Loop: Header=BB11_4 Depth=1
	v_mul_hi_u32 v3, v0, v19
	s_delay_alu instid0(VALU_DEP_1) | instskip(NEXT) | instid1(VALU_DEP_1)
	v_mul_lo_u32 v4, v3, s16
	v_dual_add_nc_u32 v5, 1, v3 :: v_dual_sub_nc_u32 v4, v0, v4
	s_delay_alu instid0(VALU_DEP_1) | instskip(SKIP_1) | instid1(VALU_DEP_2)
	v_subrev_nc_u32_e32 v6, s16, v4
	v_cmp_le_u32_e32 vcc_lo, s16, v4
	v_dual_cndmask_b32 v4, v4, v6 :: v_dual_cndmask_b32 v3, v3, v5
	s_delay_alu instid0(VALU_DEP_1) | instskip(NEXT) | instid1(VALU_DEP_2)
	v_cmp_le_u32_e32 vcc_lo, s16, v4
	v_add_nc_u32_e32 v5, 1, v3
	s_delay_alu instid0(VALU_DEP_1)
	v_dual_cndmask_b32 v4, v3, v5 :: v_dual_mov_b32 v5, v2
.LBB11_9:                               ;   in Loop: Header=BB11_4 Depth=1
	s_or_b32 exec_lo, exec_lo, s0
	s_delay_alu instid0(VALU_DEP_1)
	v_mul_u64_e32 v[4:5], s[18:19], v[4:5]
.LBB11_10:                              ;   in Loop: Header=BB11_4 Depth=1
	v_lshl_add_u64 v[6:7], v[0:1], 2, s[6:7]
	v_cmp_ne_u32_e64 s0, 1, v18
	s_and_not1_b32 vcc_lo, exec_lo, s26
	s_mov_b32 s2, -1
                                        ; implicit-def: $vgpr8_vgpr9
	global_load_b32 v3, v[6:7], off
	s_wait_xcnt 0x0
	v_add_nc_u64_e32 v[6:7], s[18:19], v[4:5]
	s_cbranch_vccnz .LBB11_20
; %bb.11:                               ;   in Loop: Header=BB11_4 Depth=1
	v_mov_b64_e32 v[8:9], v[4:5]
	s_and_b32 vcc_lo, exec_lo, s0
	s_cbranch_vccnz .LBB11_19
; %bb.12:                               ;   in Loop: Header=BB11_4 Depth=1
	v_mov_b64_e32 v[8:9], v[4:5]
	s_delay_alu instid0(VALU_DEP_3)
	v_mov_b64_e32 v[12:13], v[6:7]
	v_lshl_add_u64 v[10:11], v[4:5], 2, s[8:9]
	s_mov_b32 s0, 0
	s_branch .LBB11_14
.LBB11_13:                              ;   in Loop: Header=BB11_14 Depth=2
	global_load_b32 v20, v[16:17], off
	s_wait_xcnt 0x0
	v_add_nc_u64_e32 v[16:17], 1, v[14:15]
	s_wait_loadcnt 0x0
	v_cmp_lt_i32_e32 vcc_lo, v20, v3
	v_dual_cndmask_b32 v13, v15, v13 :: v_dual_cndmask_b32 v12, v14, v12
	s_delay_alu instid0(VALU_DEP_3) | instskip(NEXT) | instid1(VALU_DEP_1)
	v_dual_cndmask_b32 v9, v9, v17 :: v_dual_cndmask_b32 v8, v8, v16
	v_cmp_ge_i64_e32 vcc_lo, v[8:9], v[12:13]
	s_or_b32 s0, vcc_lo, s0
	s_delay_alu instid0(SALU_CYCLE_1)
	s_and_not1_b32 exec_lo, exec_lo, s0
	s_cbranch_execz .LBB11_18
.LBB11_14:                              ;   Parent Loop BB11_4 Depth=1
                                        ; =>  This Inner Loop Header: Depth=2
	s_delay_alu instid0(VALU_DEP_2) | instskip(SKIP_1) | instid1(VALU_DEP_1)
	v_sub_nc_u64_e32 v[14:15], v[12:13], v[8:9]
	s_and_not1_b32 vcc_lo, exec_lo, s1
	v_lshrrev_b64 v[14:15], 1, v[14:15]
	s_delay_alu instid0(VALU_DEP_1)
	v_add_nc_u64_e32 v[14:15], v[14:15], v[8:9]
	s_cbranch_vccnz .LBB11_16
; %bb.15:                               ;   in Loop: Header=BB11_14 Depth=2
	s_delay_alu instid0(VALU_DEP_1)
	v_lshl_add_u64 v[16:17], v[14:15], 3, s[10:11]
	global_load_b64 v[16:17], v[16:17], off
	s_wait_loadcnt 0x0
	s_wait_xcnt 0x0
	v_lshl_add_u64 v[16:17], v[16:17], 2, v[10:11]
	s_cbranch_execnz .LBB11_13
	s_branch .LBB11_17
.LBB11_16:                              ;   in Loop: Header=BB11_14 Depth=2
                                        ; implicit-def: $vgpr16_vgpr17
.LBB11_17:                              ;   in Loop: Header=BB11_14 Depth=2
	s_delay_alu instid0(VALU_DEP_1)
	v_lshl_add_u64 v[16:17], v[14:15], 2, s[8:9]
	s_branch .LBB11_13
.LBB11_18:                              ;   in Loop: Header=BB11_4 Depth=1
	s_or_b32 exec_lo, exec_lo, s0
.LBB11_19:                              ;   in Loop: Header=BB11_4 Depth=1
	s_mov_b32 s2, 0
.LBB11_20:                              ;   in Loop: Header=BB11_4 Depth=1
	s_delay_alu instid0(SALU_CYCLE_1)
	s_and_not1_b32 vcc_lo, exec_lo, s2
	s_cbranch_vccnz .LBB11_3
; %bb.21:                               ;   in Loop: Header=BB11_4 Depth=1
	v_mov_b64_e32 v[8:9], v[4:5]
	s_and_not1_b32 vcc_lo, exec_lo, s28
	s_cbranch_vccnz .LBB11_3
; %bb.22:                               ;   in Loop: Header=BB11_4 Depth=1
	v_mov_b64_e32 v[8:9], v[4:5]
	v_lshl_add_u64 v[10:11], v[4:5], 2, s[8:9]
	s_mov_b32 s0, 0
	s_branch .LBB11_24
.LBB11_23:                              ;   in Loop: Header=BB11_24 Depth=2
	global_load_b32 v5, v[14:15], off
	s_wait_xcnt 0x0
	v_add_nc_u64_e32 v[14:15], 1, v[12:13]
	s_wait_loadcnt 0x0
	v_cmp_gt_i32_e32 vcc_lo, v5, v3
	v_dual_cndmask_b32 v7, v7, v13 :: v_dual_cndmask_b32 v6, v6, v12
	s_delay_alu instid0(VALU_DEP_3) | instskip(NEXT) | instid1(VALU_DEP_1)
	v_dual_cndmask_b32 v9, v15, v9 :: v_dual_cndmask_b32 v8, v14, v8
	v_cmp_ge_i64_e32 vcc_lo, v[8:9], v[6:7]
	s_or_b32 s0, vcc_lo, s0
	s_delay_alu instid0(SALU_CYCLE_1)
	s_and_not1_b32 exec_lo, exec_lo, s0
	s_cbranch_execz .LBB11_2
.LBB11_24:                              ;   Parent Loop BB11_4 Depth=1
                                        ; =>  This Inner Loop Header: Depth=2
	s_delay_alu instid0(VALU_DEP_2) | instskip(SKIP_1) | instid1(VALU_DEP_1)
	v_sub_nc_u64_e32 v[12:13], v[6:7], v[8:9]
	s_and_not1_b32 vcc_lo, exec_lo, s1
	v_lshrrev_b64 v[12:13], 1, v[12:13]
	s_delay_alu instid0(VALU_DEP_1)
	v_add_nc_u64_e32 v[12:13], v[12:13], v[8:9]
	s_cbranch_vccnz .LBB11_26
; %bb.25:                               ;   in Loop: Header=BB11_24 Depth=2
	s_delay_alu instid0(VALU_DEP_1)
	v_lshl_add_u64 v[14:15], v[12:13], 3, s[10:11]
	global_load_b64 v[14:15], v[14:15], off
	s_wait_loadcnt 0x0
	s_wait_xcnt 0x0
	v_lshl_add_u64 v[14:15], v[14:15], 2, v[10:11]
	s_cbranch_execnz .LBB11_23
	s_branch .LBB11_27
.LBB11_26:                              ;   in Loop: Header=BB11_24 Depth=2
                                        ; implicit-def: $vgpr14_vgpr15
.LBB11_27:                              ;   in Loop: Header=BB11_24 Depth=2
	s_delay_alu instid0(VALU_DEP_1)
	v_lshl_add_u64 v[14:15], v[12:13], 2, s[8:9]
	s_branch .LBB11_23
.LBB11_28:
	s_endpgm
	.section	.rodata,"a",@progbits
	.p2align	6, 0x0
	.amdhsa_kernel _ZN2at6native12_GLOBAL__N_124searchsorted_cuda_kernelIiiEEvPT0_PKT_S7_PKllllbb
		.amdhsa_group_segment_fixed_size 0
		.amdhsa_private_segment_fixed_size 0
		.amdhsa_kernarg_size 320
		.amdhsa_user_sgpr_count 2
		.amdhsa_user_sgpr_dispatch_ptr 0
		.amdhsa_user_sgpr_queue_ptr 0
		.amdhsa_user_sgpr_kernarg_segment_ptr 1
		.amdhsa_user_sgpr_dispatch_id 0
		.amdhsa_user_sgpr_kernarg_preload_length 0
		.amdhsa_user_sgpr_kernarg_preload_offset 0
		.amdhsa_user_sgpr_private_segment_size 0
		.amdhsa_wavefront_size32 1
		.amdhsa_uses_dynamic_stack 0
		.amdhsa_enable_private_segment 0
		.amdhsa_system_sgpr_workgroup_id_x 1
		.amdhsa_system_sgpr_workgroup_id_y 0
		.amdhsa_system_sgpr_workgroup_id_z 0
		.amdhsa_system_sgpr_workgroup_info 0
		.amdhsa_system_vgpr_workitem_id 0
		.amdhsa_next_free_vgpr 21
		.amdhsa_next_free_sgpr 42
		.amdhsa_named_barrier_count 0
		.amdhsa_reserve_vcc 1
		.amdhsa_float_round_mode_32 0
		.amdhsa_float_round_mode_16_64 0
		.amdhsa_float_denorm_mode_32 3
		.amdhsa_float_denorm_mode_16_64 3
		.amdhsa_fp16_overflow 0
		.amdhsa_memory_ordered 1
		.amdhsa_forward_progress 1
		.amdhsa_inst_pref_size 12
		.amdhsa_round_robin_scheduling 0
		.amdhsa_exception_fp_ieee_invalid_op 0
		.amdhsa_exception_fp_denorm_src 0
		.amdhsa_exception_fp_ieee_div_zero 0
		.amdhsa_exception_fp_ieee_overflow 0
		.amdhsa_exception_fp_ieee_underflow 0
		.amdhsa_exception_fp_ieee_inexact 0
		.amdhsa_exception_int_div_zero 0
	.end_amdhsa_kernel
	.section	.text._ZN2at6native12_GLOBAL__N_124searchsorted_cuda_kernelIiiEEvPT0_PKT_S7_PKllllbb,"axG",@progbits,_ZN2at6native12_GLOBAL__N_124searchsorted_cuda_kernelIiiEEvPT0_PKT_S7_PKllllbb,comdat
.Lfunc_end11:
	.size	_ZN2at6native12_GLOBAL__N_124searchsorted_cuda_kernelIiiEEvPT0_PKT_S7_PKllllbb, .Lfunc_end11-_ZN2at6native12_GLOBAL__N_124searchsorted_cuda_kernelIiiEEvPT0_PKT_S7_PKllllbb
                                        ; -- End function
	.set _ZN2at6native12_GLOBAL__N_124searchsorted_cuda_kernelIiiEEvPT0_PKT_S7_PKllllbb.num_vgpr, 21
	.set _ZN2at6native12_GLOBAL__N_124searchsorted_cuda_kernelIiiEEvPT0_PKT_S7_PKllllbb.num_agpr, 0
	.set _ZN2at6native12_GLOBAL__N_124searchsorted_cuda_kernelIiiEEvPT0_PKT_S7_PKllllbb.numbered_sgpr, 42
	.set _ZN2at6native12_GLOBAL__N_124searchsorted_cuda_kernelIiiEEvPT0_PKT_S7_PKllllbb.num_named_barrier, 0
	.set _ZN2at6native12_GLOBAL__N_124searchsorted_cuda_kernelIiiEEvPT0_PKT_S7_PKllllbb.private_seg_size, 0
	.set _ZN2at6native12_GLOBAL__N_124searchsorted_cuda_kernelIiiEEvPT0_PKT_S7_PKllllbb.uses_vcc, 1
	.set _ZN2at6native12_GLOBAL__N_124searchsorted_cuda_kernelIiiEEvPT0_PKT_S7_PKllllbb.uses_flat_scratch, 0
	.set _ZN2at6native12_GLOBAL__N_124searchsorted_cuda_kernelIiiEEvPT0_PKT_S7_PKllllbb.has_dyn_sized_stack, 0
	.set _ZN2at6native12_GLOBAL__N_124searchsorted_cuda_kernelIiiEEvPT0_PKT_S7_PKllllbb.has_recursion, 0
	.set _ZN2at6native12_GLOBAL__N_124searchsorted_cuda_kernelIiiEEvPT0_PKT_S7_PKllllbb.has_indirect_call, 0
	.section	.AMDGPU.csdata,"",@progbits
; Kernel info:
; codeLenInByte = 1516
; TotalNumSgprs: 44
; NumVgprs: 21
; ScratchSize: 0
; MemoryBound: 0
; FloatMode: 240
; IeeeMode: 1
; LDSByteSize: 0 bytes/workgroup (compile time only)
; SGPRBlocks: 0
; VGPRBlocks: 1
; NumSGPRsForWavesPerEU: 44
; NumVGPRsForWavesPerEU: 21
; NamedBarCnt: 0
; Occupancy: 16
; WaveLimiterHint : 0
; COMPUTE_PGM_RSRC2:SCRATCH_EN: 0
; COMPUTE_PGM_RSRC2:USER_SGPR: 2
; COMPUTE_PGM_RSRC2:TRAP_HANDLER: 0
; COMPUTE_PGM_RSRC2:TGID_X_EN: 1
; COMPUTE_PGM_RSRC2:TGID_Y_EN: 0
; COMPUTE_PGM_RSRC2:TGID_Z_EN: 0
; COMPUTE_PGM_RSRC2:TIDIG_COMP_CNT: 0
	.section	.text._ZN2at6native12_GLOBAL__N_124searchsorted_cuda_kernelIliEEvPT0_PKT_S7_PKllllbb,"axG",@progbits,_ZN2at6native12_GLOBAL__N_124searchsorted_cuda_kernelIliEEvPT0_PKT_S7_PKllllbb,comdat
	.globl	_ZN2at6native12_GLOBAL__N_124searchsorted_cuda_kernelIliEEvPT0_PKT_S7_PKllllbb ; -- Begin function _ZN2at6native12_GLOBAL__N_124searchsorted_cuda_kernelIliEEvPT0_PKT_S7_PKllllbb
	.p2align	8
	.type	_ZN2at6native12_GLOBAL__N_124searchsorted_cuda_kernelIliEEvPT0_PKT_S7_PKllllbb,@function
_ZN2at6native12_GLOBAL__N_124searchsorted_cuda_kernelIliEEvPT0_PKT_S7_PKllllbb: ; @_ZN2at6native12_GLOBAL__N_124searchsorted_cuda_kernelIliEEvPT0_PKT_S7_PKllllbb
; %bb.0:
	s_clause 0x1
	s_load_b32 s2, s[0:1], 0x4c
	s_load_b128 s[12:15], s[0:1], 0x30
	s_bfe_u32 s3, ttmp6, 0x4000c
	v_mov_b32_e32 v2, 0
	s_add_co_i32 s3, s3, 1
	s_and_b32 s4, ttmp6, 15
	s_mul_i32 s3, ttmp9, s3
	s_getreg_b32 s5, hwreg(HW_REG_IB_STS2, 6, 4)
	v_mov_b32_e32 v1, v2
	s_add_co_i32 s4, s4, s3
	s_wait_kmcnt 0x0
	s_and_b32 s2, s2, 0xffff
	s_cmp_eq_u32 s5, 0
	s_cselect_b32 s3, ttmp9, s4
	s_mov_b32 s4, exec_lo
	v_mad_nc_u64_u32 v[0:1], s2, s3, v[0:1]
	s_mov_b32 s3, 0
	s_delay_alu instid0(VALU_DEP_1)
	v_cmpx_gt_i64_e64 s[12:13], v[0:1]
	s_cbranch_execz .LBB12_28
; %bb.1:
	s_clause 0x2
	s_load_b128 s[16:19], s[0:1], 0x20
	s_load_b32 s14, s[0:1], 0x38
	s_load_b256 s[4:11], s[0:1], 0x0
	s_mov_b32 s21, s3
	s_mov_b32 s29, 0
	s_wait_kmcnt 0x0
	v_cvt_f32_u32_e32 v3, s16
	s_bitcmp1_b32 s14, 0
	v_cmp_gt_i64_e64 s28, s[18:19], 0
	s_cselect_b32 s15, -1, 0
	v_rcp_iflag_f32_e32 v3, v3
	s_xor_b32 s26, s15, -1
	s_bitcmp1_b32 s14, 8
	s_cselect_b32 s14, -1, 0
	v_cndmask_b32_e64 v20, 0, 1, s28
	s_xor_b32 s27, s14, -1
	s_delay_alu instid0(TRANS32_DEP_1)
	v_mul_f32_e32 v3, 0x4f7ffffe, v3
	s_cmp_lg_u64 s[10:11], 0
	s_add_nc_u64 s[14:15], s[0:1], 64
	s_cselect_b32 s1, -1, 0
	s_sub_co_i32 s0, 0, s16
	v_cvt_u32_f32_e32 v3, v3
	s_load_b32 s20, s[14:15], 0x0
	s_wait_xcnt 0x0
	s_mov_b64 s[14:15], 0xffffffff
	s_ashr_i32 s22, s17, 31
	v_mul_lo_u32 v4, s0, v3
	s_delay_alu instid0(VALU_DEP_1) | instskip(SKIP_2) | instid1(VALU_DEP_1)
	v_mul_hi_u32 v4, v3, v4
	s_wait_kmcnt 0x0
	s_mul_i32 s20, s20, s2
	v_add_nc_u32_e32 v21, v3, v4
	s_branch .LBB12_4
.LBB12_2:                               ;   in Loop: Header=BB12_4 Depth=1
	s_or_b32 exec_lo, exec_lo, s0
.LBB12_3:                               ;   in Loop: Header=BB12_4 Depth=1
	s_wait_loadcnt 0x0
	s_wait_xcnt 0x0
	v_lshl_add_u64 v[6:7], v[0:1], 2, s[4:5]
	v_add_nc_u64_e32 v[0:1], s[20:21], v[0:1]
	v_sub_nc_u32_e32 v3, v10, v4
	global_store_b32 v[6:7], v3, off
	v_cmp_le_i64_e32 vcc_lo, s[12:13], v[0:1]
	s_or_b32 s29, vcc_lo, s29
	s_wait_xcnt 0x0
	s_and_not1_b32 exec_lo, exec_lo, s29
	s_cbranch_execz .LBB12_28
.LBB12_4:                               ; =>This Loop Header: Depth=1
                                        ;     Child Loop BB12_14 Depth 2
                                        ;     Child Loop BB12_24 Depth 2
	v_mov_b64_e32 v[4:5], 0
	s_and_not1_b32 vcc_lo, exec_lo, s27
	s_cbranch_vccnz .LBB12_10
; %bb.5:                                ;   in Loop: Header=BB12_4 Depth=1
	v_or_b32_e32 v3, s17, v1
                                        ; implicit-def: $vgpr4_vgpr5
	s_mov_b32 s0, exec_lo
	s_delay_alu instid0(VALU_DEP_1)
	v_cmpx_ne_u64_e32 0, v[2:3]
	s_xor_b32 s30, exec_lo, s0
	s_cbranch_execz .LBB12_7
; %bb.6:                                ;   in Loop: Header=BB12_4 Depth=1
	s_mov_b32 s23, s22
	v_dual_mov_b32 v9, v2 :: v_dual_ashrrev_i32 v4, 31, v1
	s_add_nc_u64 s[24:25], s[16:17], s[22:23]
	s_delay_alu instid0(SALU_CYCLE_1) | instskip(NEXT) | instid1(VALU_DEP_1)
	s_xor_b64 s[24:25], s[24:25], s[22:23]
	v_mov_b32_e32 v5, v4
	s_cvt_f32_u32 s0, s24
	s_cvt_f32_u32 s2, s25
	s_sub_nc_u64 s[36:37], 0, s[24:25]
	s_delay_alu instid0(VALU_DEP_1) | instskip(NEXT) | instid1(SALU_CYCLE_1)
	v_add_nc_u64_e32 v[6:7], v[0:1], v[4:5]
	s_fmamk_f32 s0, s2, 0x4f800000, s0
	v_mov_b32_e32 v13, v2
	s_delay_alu instid0(SALU_CYCLE_2) | instskip(NEXT) | instid1(VALU_DEP_2)
	v_s_rcp_f32 s0, s0
	v_xor_b32_e32 v8, v6, v4
	s_delay_alu instid0(VALU_DEP_3) | instskip(SKIP_1) | instid1(TRANS32_DEP_1)
	v_dual_mov_b32 v17, v2 :: v_dual_bitop2_b32 v12, v7, v4 bitop3:0x14
	v_xor_b32_e32 v4, s22, v4
	s_mul_f32 s0, s0, 0x5f7ffffc
	s_delay_alu instid0(SALU_CYCLE_3) | instskip(NEXT) | instid1(SALU_CYCLE_3)
	s_mul_f32 s2, s0, 0x2f800000
	s_trunc_f32 s2, s2
	s_delay_alu instid0(SALU_CYCLE_3) | instskip(SKIP_1) | instid1(SALU_CYCLE_2)
	s_fmamk_f32 s0, s2, 0xcf800000, s0
	s_cvt_u32_f32 s35, s2
	s_cvt_u32_f32 s34, s0
	s_delay_alu instid0(SALU_CYCLE_3) | instskip(NEXT) | instid1(SALU_CYCLE_1)
	s_mul_u64 s[38:39], s[36:37], s[34:35]
	s_mul_hi_u32 s41, s34, s39
	s_mul_i32 s40, s34, s39
	s_mul_hi_u32 s2, s34, s38
	s_mul_i32 s23, s35, s38
	s_add_nc_u64 s[40:41], s[2:3], s[40:41]
	s_mul_hi_u32 s0, s35, s38
	s_mul_hi_u32 s31, s35, s39
	s_add_co_u32 s2, s40, s23
	s_add_co_ci_u32 s2, s41, s0
	s_mul_i32 s38, s35, s39
	s_add_co_ci_u32 s39, s31, 0
	s_delay_alu instid0(SALU_CYCLE_1) | instskip(NEXT) | instid1(SALU_CYCLE_1)
	s_add_nc_u64 s[38:39], s[2:3], s[38:39]
	s_add_co_u32 s34, s34, s38
	s_cselect_b32 s0, -1, 0
	s_delay_alu instid0(SALU_CYCLE_1) | instskip(SKIP_1) | instid1(SALU_CYCLE_1)
	s_cmp_lg_u32 s0, 0
	s_add_co_ci_u32 s35, s35, s39
	s_mul_u64 s[36:37], s[36:37], s[34:35]
	s_delay_alu instid0(SALU_CYCLE_1)
	s_mul_hi_u32 s39, s34, s37
	s_mul_i32 s38, s34, s37
	s_mul_hi_u32 s2, s34, s36
	s_mul_i32 s23, s35, s36
	s_add_nc_u64 s[38:39], s[2:3], s[38:39]
	s_mul_hi_u32 s0, s35, s36
	s_mul_hi_u32 s31, s35, s37
	s_add_co_u32 s2, s38, s23
	s_add_co_ci_u32 s2, s39, s0
	s_mul_i32 s36, s35, s37
	s_add_co_ci_u32 s37, s31, 0
	s_delay_alu instid0(SALU_CYCLE_1) | instskip(NEXT) | instid1(SALU_CYCLE_1)
	s_add_nc_u64 s[36:37], s[2:3], s[36:37]
	s_add_co_u32 s0, s34, s36
	s_cselect_b32 s2, -1, 0
	v_mul_hi_u32 v16, v8, s0
	s_cmp_lg_u32 s2, 0
	s_add_co_ci_u32 s2, s35, s37
	s_and_b64 s[34:35], s[0:1], s[14:15]
	v_mul_u64_e32 v[10:11], s[2:3], v[8:9]
	v_mul_u64_e32 v[6:7], s[34:35], v[12:13]
	;; [unrolled: 1-line block ×3, first 2 shown]
	s_delay_alu instid0(VALU_DEP_3) | instskip(NEXT) | instid1(VALU_DEP_1)
	v_add_nc_u64_e32 v[10:11], v[16:17], v[10:11]
	v_add_co_u32 v3, vcc_lo, v10, v6
	s_delay_alu instid0(VALU_DEP_2) | instskip(NEXT) | instid1(VALU_DEP_4)
	v_add_co_ci_u32_e32 v16, vcc_lo, v11, v7, vcc_lo
	v_add_co_ci_u32_e32 v15, vcc_lo, 0, v15, vcc_lo
	s_delay_alu instid0(VALU_DEP_1) | instskip(NEXT) | instid1(VALU_DEP_1)
	v_add_nc_u64_e32 v[6:7], v[16:17], v[14:15]
	v_mul_u64_e32 v[10:11], s[24:25], v[6:7]
	s_delay_alu instid0(VALU_DEP_1) | instskip(NEXT) | instid1(VALU_DEP_2)
	v_sub_nc_u32_e32 v3, v12, v11
	v_sub_co_u32 v5, vcc_lo, v8, v10
	s_delay_alu instid0(VALU_DEP_1) | instskip(NEXT) | instid1(VALU_DEP_3)
	v_sub_co_ci_u32_e64 v12, null, v12, v11, vcc_lo
	v_subrev_co_ci_u32_e64 v3, null, s25, v3, vcc_lo
	s_delay_alu instid0(VALU_DEP_3) | instskip(SKIP_1) | instid1(VALU_DEP_3)
	v_sub_co_u32 v8, s0, v5, s24
	v_add_nc_u64_e32 v[10:11], 1, v[6:7]
	v_subrev_co_ci_u32_e64 v3, null, 0, v3, s0
	s_delay_alu instid0(VALU_DEP_3) | instskip(SKIP_1) | instid1(VALU_DEP_3)
	v_cmp_le_u32_e32 vcc_lo, s24, v8
	v_cndmask_b32_e64 v8, 0, -1, vcc_lo
	v_cmp_le_u32_e32 vcc_lo, s25, v3
	v_cndmask_b32_e64 v9, 0, -1, vcc_lo
	;; [unrolled: 2-line block ×4, first 2 shown]
	v_cmp_eq_u32_e32 vcc_lo, s25, v3
	v_cndmask_b32_e32 v3, v9, v8, vcc_lo
	v_cmp_eq_u32_e32 vcc_lo, s25, v12
	v_add_nc_u64_e32 v[8:9], 2, v[6:7]
	v_cndmask_b32_e32 v5, v13, v5, vcc_lo
	s_delay_alu instid0(VALU_DEP_4) | instskip(NEXT) | instid1(VALU_DEP_2)
	v_cmp_ne_u32_e32 vcc_lo, 0, v3
	v_cmp_ne_u32_e64 s0, 0, v5
	s_delay_alu instid0(VALU_DEP_4) | instskip(NEXT) | instid1(VALU_DEP_1)
	v_dual_cndmask_b32 v3, v11, v9, vcc_lo :: v_dual_cndmask_b32 v5, v10, v8, vcc_lo
	v_dual_cndmask_b32 v6, v6, v5, s0 :: v_dual_mov_b32 v5, v4
	s_delay_alu instid0(VALU_DEP_1) | instskip(NEXT) | instid1(VALU_DEP_1)
	v_dual_cndmask_b32 v3, v7, v3, s0 :: v_dual_bitop2_b32 v6, v6, v4 bitop3:0x14
	v_xor_b32_e32 v7, v3, v4
	s_delay_alu instid0(VALU_DEP_1)
	v_sub_nc_u64_e32 v[4:5], v[6:7], v[4:5]
.LBB12_7:                               ;   in Loop: Header=BB12_4 Depth=1
	s_and_not1_saveexec_b32 s0, s30
	s_cbranch_execz .LBB12_9
; %bb.8:                                ;   in Loop: Header=BB12_4 Depth=1
	v_mul_hi_u32 v3, v0, v21
	s_delay_alu instid0(VALU_DEP_1) | instskip(NEXT) | instid1(VALU_DEP_1)
	v_mul_lo_u32 v4, v3, s16
	v_dual_add_nc_u32 v5, 1, v3 :: v_dual_sub_nc_u32 v4, v0, v4
	s_delay_alu instid0(VALU_DEP_1) | instskip(SKIP_1) | instid1(VALU_DEP_2)
	v_subrev_nc_u32_e32 v6, s16, v4
	v_cmp_le_u32_e32 vcc_lo, s16, v4
	v_dual_cndmask_b32 v4, v4, v6 :: v_dual_cndmask_b32 v3, v3, v5
	s_delay_alu instid0(VALU_DEP_1) | instskip(NEXT) | instid1(VALU_DEP_2)
	v_cmp_le_u32_e32 vcc_lo, s16, v4
	v_add_nc_u32_e32 v5, 1, v3
	s_delay_alu instid0(VALU_DEP_1)
	v_dual_cndmask_b32 v4, v3, v5 :: v_dual_mov_b32 v5, v2
.LBB12_9:                               ;   in Loop: Header=BB12_4 Depth=1
	s_or_b32 exec_lo, exec_lo, s0
	s_delay_alu instid0(VALU_DEP_1)
	v_mul_u64_e32 v[4:5], s[18:19], v[4:5]
.LBB12_10:                              ;   in Loop: Header=BB12_4 Depth=1
	v_lshl_add_u64 v[6:7], v[0:1], 3, s[6:7]
	s_delay_alu instid0(VALU_DEP_2)
	v_add_nc_u64_e32 v[8:9], s[18:19], v[4:5]
	v_cmp_ne_u32_e64 s0, 1, v20
	s_and_not1_b32 vcc_lo, exec_lo, s26
	s_mov_b32 s2, -1
	global_load_b64 v[6:7], v[6:7], off
                                        ; implicit-def: $vgpr10_vgpr11
	s_cbranch_vccnz .LBB12_20
; %bb.11:                               ;   in Loop: Header=BB12_4 Depth=1
	v_mov_b64_e32 v[10:11], v[4:5]
	s_and_b32 vcc_lo, exec_lo, s0
	s_cbranch_vccnz .LBB12_19
; %bb.12:                               ;   in Loop: Header=BB12_4 Depth=1
	v_mov_b64_e32 v[10:11], v[4:5]
	v_mov_b64_e32 v[14:15], v[8:9]
	v_lshl_add_u64 v[12:13], v[4:5], 3, s[8:9]
	s_mov_b32 s0, 0
	s_branch .LBB12_14
.LBB12_13:                              ;   in Loop: Header=BB12_14 Depth=2
	global_load_b64 v[18:19], v[18:19], off
	s_wait_loadcnt 0x0
	v_cmp_lt_i64_e32 vcc_lo, v[18:19], v[6:7]
	s_wait_xcnt 0x0
	v_add_nc_u64_e32 v[18:19], 1, v[16:17]
	v_dual_cndmask_b32 v15, v17, v15 :: v_dual_cndmask_b32 v14, v16, v14
	s_delay_alu instid0(VALU_DEP_2) | instskip(NEXT) | instid1(VALU_DEP_1)
	v_dual_cndmask_b32 v11, v11, v19 :: v_dual_cndmask_b32 v10, v10, v18
	v_cmp_ge_i64_e32 vcc_lo, v[10:11], v[14:15]
	s_or_b32 s0, vcc_lo, s0
	s_delay_alu instid0(SALU_CYCLE_1)
	s_and_not1_b32 exec_lo, exec_lo, s0
	s_cbranch_execz .LBB12_18
.LBB12_14:                              ;   Parent Loop BB12_4 Depth=1
                                        ; =>  This Inner Loop Header: Depth=2
	s_delay_alu instid0(VALU_DEP_2) | instskip(SKIP_1) | instid1(VALU_DEP_1)
	v_sub_nc_u64_e32 v[16:17], v[14:15], v[10:11]
	s_and_not1_b32 vcc_lo, exec_lo, s1
	v_lshrrev_b64 v[16:17], 1, v[16:17]
	s_delay_alu instid0(VALU_DEP_1)
	v_add_nc_u64_e32 v[16:17], v[16:17], v[10:11]
	s_cbranch_vccnz .LBB12_16
; %bb.15:                               ;   in Loop: Header=BB12_14 Depth=2
	s_delay_alu instid0(VALU_DEP_1)
	v_lshl_add_u64 v[18:19], v[16:17], 3, s[10:11]
	global_load_b64 v[18:19], v[18:19], off
	s_wait_loadcnt 0x0
	s_wait_xcnt 0x0
	v_lshl_add_u64 v[18:19], v[18:19], 3, v[12:13]
	s_cbranch_execnz .LBB12_13
	s_branch .LBB12_17
.LBB12_16:                              ;   in Loop: Header=BB12_14 Depth=2
                                        ; implicit-def: $vgpr18_vgpr19
.LBB12_17:                              ;   in Loop: Header=BB12_14 Depth=2
	s_delay_alu instid0(VALU_DEP_1)
	v_lshl_add_u64 v[18:19], v[16:17], 3, s[8:9]
	s_branch .LBB12_13
.LBB12_18:                              ;   in Loop: Header=BB12_4 Depth=1
	s_or_b32 exec_lo, exec_lo, s0
.LBB12_19:                              ;   in Loop: Header=BB12_4 Depth=1
	s_mov_b32 s2, 0
.LBB12_20:                              ;   in Loop: Header=BB12_4 Depth=1
	s_delay_alu instid0(SALU_CYCLE_1)
	s_and_not1_b32 vcc_lo, exec_lo, s2
	s_cbranch_vccnz .LBB12_3
; %bb.21:                               ;   in Loop: Header=BB12_4 Depth=1
	v_mov_b64_e32 v[10:11], v[4:5]
	s_and_not1_b32 vcc_lo, exec_lo, s28
	s_cbranch_vccnz .LBB12_3
; %bb.22:                               ;   in Loop: Header=BB12_4 Depth=1
	v_mov_b64_e32 v[10:11], v[4:5]
	v_lshl_add_u64 v[12:13], v[4:5], 3, s[8:9]
	s_mov_b32 s0, 0
	s_branch .LBB12_24
.LBB12_23:                              ;   in Loop: Header=BB12_24 Depth=2
	global_load_b64 v[16:17], v[16:17], off
	s_wait_loadcnt 0x0
	v_cmp_gt_i64_e32 vcc_lo, v[16:17], v[6:7]
	s_wait_xcnt 0x0
	v_add_nc_u64_e32 v[16:17], 1, v[14:15]
	v_dual_cndmask_b32 v9, v9, v15 :: v_dual_cndmask_b32 v8, v8, v14
	s_delay_alu instid0(VALU_DEP_2) | instskip(NEXT) | instid1(VALU_DEP_1)
	v_dual_cndmask_b32 v11, v17, v11 :: v_dual_cndmask_b32 v10, v16, v10
	v_cmp_ge_i64_e32 vcc_lo, v[10:11], v[8:9]
	s_or_b32 s0, vcc_lo, s0
	s_delay_alu instid0(SALU_CYCLE_1)
	s_and_not1_b32 exec_lo, exec_lo, s0
	s_cbranch_execz .LBB12_2
.LBB12_24:                              ;   Parent Loop BB12_4 Depth=1
                                        ; =>  This Inner Loop Header: Depth=2
	s_delay_alu instid0(VALU_DEP_2) | instskip(SKIP_1) | instid1(VALU_DEP_1)
	v_sub_nc_u64_e32 v[14:15], v[8:9], v[10:11]
	s_and_not1_b32 vcc_lo, exec_lo, s1
	v_lshrrev_b64 v[14:15], 1, v[14:15]
	s_delay_alu instid0(VALU_DEP_1)
	v_add_nc_u64_e32 v[14:15], v[14:15], v[10:11]
	s_cbranch_vccnz .LBB12_26
; %bb.25:                               ;   in Loop: Header=BB12_24 Depth=2
	s_delay_alu instid0(VALU_DEP_1)
	v_lshl_add_u64 v[16:17], v[14:15], 3, s[10:11]
	global_load_b64 v[16:17], v[16:17], off
	s_wait_loadcnt 0x0
	s_wait_xcnt 0x0
	v_lshl_add_u64 v[16:17], v[16:17], 3, v[12:13]
	s_cbranch_execnz .LBB12_23
	s_branch .LBB12_27
.LBB12_26:                              ;   in Loop: Header=BB12_24 Depth=2
                                        ; implicit-def: $vgpr16_vgpr17
.LBB12_27:                              ;   in Loop: Header=BB12_24 Depth=2
	s_delay_alu instid0(VALU_DEP_1)
	v_lshl_add_u64 v[16:17], v[14:15], 3, s[8:9]
	s_branch .LBB12_23
.LBB12_28:
	s_endpgm
	.section	.rodata,"a",@progbits
	.p2align	6, 0x0
	.amdhsa_kernel _ZN2at6native12_GLOBAL__N_124searchsorted_cuda_kernelIliEEvPT0_PKT_S7_PKllllbb
		.amdhsa_group_segment_fixed_size 0
		.amdhsa_private_segment_fixed_size 0
		.amdhsa_kernarg_size 320
		.amdhsa_user_sgpr_count 2
		.amdhsa_user_sgpr_dispatch_ptr 0
		.amdhsa_user_sgpr_queue_ptr 0
		.amdhsa_user_sgpr_kernarg_segment_ptr 1
		.amdhsa_user_sgpr_dispatch_id 0
		.amdhsa_user_sgpr_kernarg_preload_length 0
		.amdhsa_user_sgpr_kernarg_preload_offset 0
		.amdhsa_user_sgpr_private_segment_size 0
		.amdhsa_wavefront_size32 1
		.amdhsa_uses_dynamic_stack 0
		.amdhsa_enable_private_segment 0
		.amdhsa_system_sgpr_workgroup_id_x 1
		.amdhsa_system_sgpr_workgroup_id_y 0
		.amdhsa_system_sgpr_workgroup_id_z 0
		.amdhsa_system_sgpr_workgroup_info 0
		.amdhsa_system_vgpr_workitem_id 0
		.amdhsa_next_free_vgpr 22
		.amdhsa_next_free_sgpr 42
		.amdhsa_named_barrier_count 0
		.amdhsa_reserve_vcc 1
		.amdhsa_float_round_mode_32 0
		.amdhsa_float_round_mode_16_64 0
		.amdhsa_float_denorm_mode_32 3
		.amdhsa_float_denorm_mode_16_64 3
		.amdhsa_fp16_overflow 0
		.amdhsa_memory_ordered 1
		.amdhsa_forward_progress 1
		.amdhsa_inst_pref_size 12
		.amdhsa_round_robin_scheduling 0
		.amdhsa_exception_fp_ieee_invalid_op 0
		.amdhsa_exception_fp_denorm_src 0
		.amdhsa_exception_fp_ieee_div_zero 0
		.amdhsa_exception_fp_ieee_overflow 0
		.amdhsa_exception_fp_ieee_underflow 0
		.amdhsa_exception_fp_ieee_inexact 0
		.amdhsa_exception_int_div_zero 0
	.end_amdhsa_kernel
	.section	.text._ZN2at6native12_GLOBAL__N_124searchsorted_cuda_kernelIliEEvPT0_PKT_S7_PKllllbb,"axG",@progbits,_ZN2at6native12_GLOBAL__N_124searchsorted_cuda_kernelIliEEvPT0_PKT_S7_PKllllbb,comdat
.Lfunc_end12:
	.size	_ZN2at6native12_GLOBAL__N_124searchsorted_cuda_kernelIliEEvPT0_PKT_S7_PKllllbb, .Lfunc_end12-_ZN2at6native12_GLOBAL__N_124searchsorted_cuda_kernelIliEEvPT0_PKT_S7_PKllllbb
                                        ; -- End function
	.set _ZN2at6native12_GLOBAL__N_124searchsorted_cuda_kernelIliEEvPT0_PKT_S7_PKllllbb.num_vgpr, 22
	.set _ZN2at6native12_GLOBAL__N_124searchsorted_cuda_kernelIliEEvPT0_PKT_S7_PKllllbb.num_agpr, 0
	.set _ZN2at6native12_GLOBAL__N_124searchsorted_cuda_kernelIliEEvPT0_PKT_S7_PKllllbb.numbered_sgpr, 42
	.set _ZN2at6native12_GLOBAL__N_124searchsorted_cuda_kernelIliEEvPT0_PKT_S7_PKllllbb.num_named_barrier, 0
	.set _ZN2at6native12_GLOBAL__N_124searchsorted_cuda_kernelIliEEvPT0_PKT_S7_PKllllbb.private_seg_size, 0
	.set _ZN2at6native12_GLOBAL__N_124searchsorted_cuda_kernelIliEEvPT0_PKT_S7_PKllllbb.uses_vcc, 1
	.set _ZN2at6native12_GLOBAL__N_124searchsorted_cuda_kernelIliEEvPT0_PKT_S7_PKllllbb.uses_flat_scratch, 0
	.set _ZN2at6native12_GLOBAL__N_124searchsorted_cuda_kernelIliEEvPT0_PKT_S7_PKllllbb.has_dyn_sized_stack, 0
	.set _ZN2at6native12_GLOBAL__N_124searchsorted_cuda_kernelIliEEvPT0_PKT_S7_PKllllbb.has_recursion, 0
	.set _ZN2at6native12_GLOBAL__N_124searchsorted_cuda_kernelIliEEvPT0_PKT_S7_PKllllbb.has_indirect_call, 0
	.section	.AMDGPU.csdata,"",@progbits
; Kernel info:
; codeLenInByte = 1512
; TotalNumSgprs: 44
; NumVgprs: 22
; ScratchSize: 0
; MemoryBound: 0
; FloatMode: 240
; IeeeMode: 1
; LDSByteSize: 0 bytes/workgroup (compile time only)
; SGPRBlocks: 0
; VGPRBlocks: 1
; NumSGPRsForWavesPerEU: 44
; NumVGPRsForWavesPerEU: 22
; NamedBarCnt: 0
; Occupancy: 16
; WaveLimiterHint : 0
; COMPUTE_PGM_RSRC2:SCRATCH_EN: 0
; COMPUTE_PGM_RSRC2:USER_SGPR: 2
; COMPUTE_PGM_RSRC2:TRAP_HANDLER: 0
; COMPUTE_PGM_RSRC2:TGID_X_EN: 1
; COMPUTE_PGM_RSRC2:TGID_Y_EN: 0
; COMPUTE_PGM_RSRC2:TGID_Z_EN: 0
; COMPUTE_PGM_RSRC2:TIDIG_COMP_CNT: 0
	.section	.text._ZN2at6native12_GLOBAL__N_124searchsorted_cuda_kernelIsiEEvPT0_PKT_S7_PKllllbb,"axG",@progbits,_ZN2at6native12_GLOBAL__N_124searchsorted_cuda_kernelIsiEEvPT0_PKT_S7_PKllllbb,comdat
	.globl	_ZN2at6native12_GLOBAL__N_124searchsorted_cuda_kernelIsiEEvPT0_PKT_S7_PKllllbb ; -- Begin function _ZN2at6native12_GLOBAL__N_124searchsorted_cuda_kernelIsiEEvPT0_PKT_S7_PKllllbb
	.p2align	8
	.type	_ZN2at6native12_GLOBAL__N_124searchsorted_cuda_kernelIsiEEvPT0_PKT_S7_PKllllbb,@function
_ZN2at6native12_GLOBAL__N_124searchsorted_cuda_kernelIsiEEvPT0_PKT_S7_PKllllbb: ; @_ZN2at6native12_GLOBAL__N_124searchsorted_cuda_kernelIsiEEvPT0_PKT_S7_PKllllbb
; %bb.0:
	s_clause 0x1
	s_load_b32 s2, s[0:1], 0x4c
	s_load_b128 s[12:15], s[0:1], 0x30
	s_bfe_u32 s3, ttmp6, 0x4000c
	v_mov_b32_e32 v2, 0
	s_add_co_i32 s3, s3, 1
	s_and_b32 s4, ttmp6, 15
	s_mul_i32 s3, ttmp9, s3
	s_getreg_b32 s5, hwreg(HW_REG_IB_STS2, 6, 4)
	v_mov_b32_e32 v1, v2
	s_add_co_i32 s4, s4, s3
	s_wait_kmcnt 0x0
	s_and_b32 s2, s2, 0xffff
	s_cmp_eq_u32 s5, 0
	s_cselect_b32 s3, ttmp9, s4
	s_mov_b32 s4, exec_lo
	v_mad_nc_u64_u32 v[0:1], s2, s3, v[0:1]
	s_mov_b32 s3, 0
	s_delay_alu instid0(VALU_DEP_1)
	v_cmpx_gt_i64_e64 s[12:13], v[0:1]
	s_cbranch_execz .LBB13_28
; %bb.1:
	s_clause 0x2
	s_load_b128 s[16:19], s[0:1], 0x20
	s_load_b32 s14, s[0:1], 0x38
	s_load_b256 s[4:11], s[0:1], 0x0
	s_mov_b32 s21, s3
	s_mov_b32 s29, 0
	s_wait_kmcnt 0x0
	v_cvt_f32_u32_e32 v3, s16
	s_bitcmp1_b32 s14, 0
	v_cmp_gt_i64_e64 s28, s[18:19], 0
	s_cselect_b32 s15, -1, 0
	v_rcp_iflag_f32_e32 v3, v3
	s_xor_b32 s26, s15, -1
	s_bitcmp1_b32 s14, 8
	s_cselect_b32 s14, -1, 0
	v_cndmask_b32_e64 v18, 0, 1, s28
	s_xor_b32 s27, s14, -1
	s_delay_alu instid0(TRANS32_DEP_1)
	v_mul_f32_e32 v3, 0x4f7ffffe, v3
	s_cmp_lg_u64 s[10:11], 0
	s_add_nc_u64 s[14:15], s[0:1], 64
	s_cselect_b32 s1, -1, 0
	s_sub_co_i32 s0, 0, s16
	v_cvt_u32_f32_e32 v3, v3
	s_load_b32 s20, s[14:15], 0x0
	s_wait_xcnt 0x0
	s_mov_b64 s[14:15], 0xffffffff
	s_ashr_i32 s22, s17, 31
	v_mul_lo_u32 v4, s0, v3
	s_delay_alu instid0(VALU_DEP_1) | instskip(SKIP_2) | instid1(VALU_DEP_1)
	v_mul_hi_u32 v4, v3, v4
	s_wait_kmcnt 0x0
	s_mul_i32 s20, s20, s2
	v_add_nc_u32_e32 v19, v3, v4
	s_branch .LBB13_4
.LBB13_2:                               ;   in Loop: Header=BB13_4 Depth=1
	s_or_b32 exec_lo, exec_lo, s0
.LBB13_3:                               ;   in Loop: Header=BB13_4 Depth=1
	v_lshl_add_u64 v[6:7], v[0:1], 2, s[4:5]
	v_add_nc_u64_e32 v[0:1], s[20:21], v[0:1]
	s_wait_loadcnt 0x0
	s_delay_alu instid0(VALU_DEP_3)
	v_sub_nc_u32_e32 v3, v8, v4
	global_store_b32 v[6:7], v3, off
	v_cmp_le_i64_e32 vcc_lo, s[12:13], v[0:1]
	s_or_b32 s29, vcc_lo, s29
	s_wait_xcnt 0x0
	s_and_not1_b32 exec_lo, exec_lo, s29
	s_cbranch_execz .LBB13_28
.LBB13_4:                               ; =>This Loop Header: Depth=1
                                        ;     Child Loop BB13_14 Depth 2
                                        ;     Child Loop BB13_24 Depth 2
	v_mov_b64_e32 v[4:5], 0
	s_and_not1_b32 vcc_lo, exec_lo, s27
	s_cbranch_vccnz .LBB13_10
; %bb.5:                                ;   in Loop: Header=BB13_4 Depth=1
	v_or_b32_e32 v3, s17, v1
                                        ; implicit-def: $vgpr4_vgpr5
	s_mov_b32 s0, exec_lo
	s_delay_alu instid0(VALU_DEP_1)
	v_cmpx_ne_u64_e32 0, v[2:3]
	s_xor_b32 s30, exec_lo, s0
	s_cbranch_execz .LBB13_7
; %bb.6:                                ;   in Loop: Header=BB13_4 Depth=1
	s_mov_b32 s23, s22
	v_dual_mov_b32 v9, v2 :: v_dual_ashrrev_i32 v4, 31, v1
	s_add_nc_u64 s[24:25], s[16:17], s[22:23]
	s_delay_alu instid0(SALU_CYCLE_1) | instskip(NEXT) | instid1(VALU_DEP_1)
	s_xor_b64 s[24:25], s[24:25], s[22:23]
	v_mov_b32_e32 v5, v4
	s_cvt_f32_u32 s0, s24
	s_cvt_f32_u32 s2, s25
	s_sub_nc_u64 s[36:37], 0, s[24:25]
	s_delay_alu instid0(VALU_DEP_1) | instskip(NEXT) | instid1(SALU_CYCLE_1)
	v_add_nc_u64_e32 v[6:7], v[0:1], v[4:5]
	s_fmamk_f32 s0, s2, 0x4f800000, s0
	v_mov_b32_e32 v13, v2
	s_delay_alu instid0(SALU_CYCLE_2) | instskip(NEXT) | instid1(VALU_DEP_2)
	v_s_rcp_f32 s0, s0
	v_xor_b32_e32 v8, v6, v4
	s_delay_alu instid0(VALU_DEP_3) | instskip(SKIP_1) | instid1(TRANS32_DEP_1)
	v_dual_mov_b32 v17, v2 :: v_dual_bitop2_b32 v12, v7, v4 bitop3:0x14
	v_xor_b32_e32 v4, s22, v4
	s_mul_f32 s0, s0, 0x5f7ffffc
	s_delay_alu instid0(SALU_CYCLE_3) | instskip(NEXT) | instid1(SALU_CYCLE_3)
	s_mul_f32 s2, s0, 0x2f800000
	s_trunc_f32 s2, s2
	s_delay_alu instid0(SALU_CYCLE_3) | instskip(SKIP_1) | instid1(SALU_CYCLE_2)
	s_fmamk_f32 s0, s2, 0xcf800000, s0
	s_cvt_u32_f32 s35, s2
	s_cvt_u32_f32 s34, s0
	s_delay_alu instid0(SALU_CYCLE_3) | instskip(NEXT) | instid1(SALU_CYCLE_1)
	s_mul_u64 s[38:39], s[36:37], s[34:35]
	s_mul_hi_u32 s41, s34, s39
	s_mul_i32 s40, s34, s39
	s_mul_hi_u32 s2, s34, s38
	s_mul_i32 s23, s35, s38
	s_add_nc_u64 s[40:41], s[2:3], s[40:41]
	s_mul_hi_u32 s0, s35, s38
	s_mul_hi_u32 s31, s35, s39
	s_add_co_u32 s2, s40, s23
	s_add_co_ci_u32 s2, s41, s0
	s_mul_i32 s38, s35, s39
	s_add_co_ci_u32 s39, s31, 0
	s_delay_alu instid0(SALU_CYCLE_1) | instskip(NEXT) | instid1(SALU_CYCLE_1)
	s_add_nc_u64 s[38:39], s[2:3], s[38:39]
	s_add_co_u32 s34, s34, s38
	s_cselect_b32 s0, -1, 0
	s_delay_alu instid0(SALU_CYCLE_1) | instskip(SKIP_1) | instid1(SALU_CYCLE_1)
	s_cmp_lg_u32 s0, 0
	s_add_co_ci_u32 s35, s35, s39
	s_mul_u64 s[36:37], s[36:37], s[34:35]
	s_delay_alu instid0(SALU_CYCLE_1)
	s_mul_hi_u32 s39, s34, s37
	s_mul_i32 s38, s34, s37
	s_mul_hi_u32 s2, s34, s36
	s_mul_i32 s23, s35, s36
	s_add_nc_u64 s[38:39], s[2:3], s[38:39]
	s_mul_hi_u32 s0, s35, s36
	s_mul_hi_u32 s31, s35, s37
	s_add_co_u32 s2, s38, s23
	s_add_co_ci_u32 s2, s39, s0
	s_mul_i32 s36, s35, s37
	s_add_co_ci_u32 s37, s31, 0
	s_delay_alu instid0(SALU_CYCLE_1) | instskip(NEXT) | instid1(SALU_CYCLE_1)
	s_add_nc_u64 s[36:37], s[2:3], s[36:37]
	s_add_co_u32 s0, s34, s36
	s_cselect_b32 s2, -1, 0
	v_mul_hi_u32 v16, v8, s0
	s_cmp_lg_u32 s2, 0
	s_add_co_ci_u32 s2, s35, s37
	s_and_b64 s[34:35], s[0:1], s[14:15]
	v_mul_u64_e32 v[10:11], s[2:3], v[8:9]
	v_mul_u64_e32 v[6:7], s[34:35], v[12:13]
	;; [unrolled: 1-line block ×3, first 2 shown]
	s_delay_alu instid0(VALU_DEP_3) | instskip(NEXT) | instid1(VALU_DEP_1)
	v_add_nc_u64_e32 v[10:11], v[16:17], v[10:11]
	v_add_co_u32 v3, vcc_lo, v10, v6
	s_delay_alu instid0(VALU_DEP_2) | instskip(NEXT) | instid1(VALU_DEP_4)
	v_add_co_ci_u32_e32 v16, vcc_lo, v11, v7, vcc_lo
	v_add_co_ci_u32_e32 v15, vcc_lo, 0, v15, vcc_lo
	s_delay_alu instid0(VALU_DEP_1) | instskip(NEXT) | instid1(VALU_DEP_1)
	v_add_nc_u64_e32 v[6:7], v[16:17], v[14:15]
	v_mul_u64_e32 v[10:11], s[24:25], v[6:7]
	s_delay_alu instid0(VALU_DEP_1) | instskip(NEXT) | instid1(VALU_DEP_2)
	v_sub_nc_u32_e32 v3, v12, v11
	v_sub_co_u32 v5, vcc_lo, v8, v10
	s_delay_alu instid0(VALU_DEP_1) | instskip(NEXT) | instid1(VALU_DEP_3)
	v_sub_co_ci_u32_e64 v12, null, v12, v11, vcc_lo
	v_subrev_co_ci_u32_e64 v3, null, s25, v3, vcc_lo
	s_delay_alu instid0(VALU_DEP_3) | instskip(SKIP_1) | instid1(VALU_DEP_3)
	v_sub_co_u32 v8, s0, v5, s24
	v_add_nc_u64_e32 v[10:11], 1, v[6:7]
	v_subrev_co_ci_u32_e64 v3, null, 0, v3, s0
	s_delay_alu instid0(VALU_DEP_3) | instskip(SKIP_1) | instid1(VALU_DEP_3)
	v_cmp_le_u32_e32 vcc_lo, s24, v8
	v_cndmask_b32_e64 v8, 0, -1, vcc_lo
	v_cmp_le_u32_e32 vcc_lo, s25, v3
	v_cndmask_b32_e64 v9, 0, -1, vcc_lo
	;; [unrolled: 2-line block ×4, first 2 shown]
	v_cmp_eq_u32_e32 vcc_lo, s25, v3
	v_cndmask_b32_e32 v3, v9, v8, vcc_lo
	v_cmp_eq_u32_e32 vcc_lo, s25, v12
	v_add_nc_u64_e32 v[8:9], 2, v[6:7]
	v_cndmask_b32_e32 v5, v13, v5, vcc_lo
	s_delay_alu instid0(VALU_DEP_4) | instskip(NEXT) | instid1(VALU_DEP_2)
	v_cmp_ne_u32_e32 vcc_lo, 0, v3
	v_cmp_ne_u32_e64 s0, 0, v5
	s_delay_alu instid0(VALU_DEP_4) | instskip(NEXT) | instid1(VALU_DEP_1)
	v_dual_cndmask_b32 v3, v11, v9, vcc_lo :: v_dual_cndmask_b32 v5, v10, v8, vcc_lo
	v_dual_cndmask_b32 v6, v6, v5, s0 :: v_dual_mov_b32 v5, v4
	s_delay_alu instid0(VALU_DEP_1) | instskip(NEXT) | instid1(VALU_DEP_1)
	v_dual_cndmask_b32 v3, v7, v3, s0 :: v_dual_bitop2_b32 v6, v6, v4 bitop3:0x14
	v_xor_b32_e32 v7, v3, v4
	s_delay_alu instid0(VALU_DEP_1)
	v_sub_nc_u64_e32 v[4:5], v[6:7], v[4:5]
.LBB13_7:                               ;   in Loop: Header=BB13_4 Depth=1
	s_and_not1_saveexec_b32 s0, s30
	s_cbranch_execz .LBB13_9
; %bb.8:                                ;   in Loop: Header=BB13_4 Depth=1
	v_mul_hi_u32 v3, v0, v19
	s_delay_alu instid0(VALU_DEP_1) | instskip(NEXT) | instid1(VALU_DEP_1)
	v_mul_lo_u32 v4, v3, s16
	v_dual_add_nc_u32 v5, 1, v3 :: v_dual_sub_nc_u32 v4, v0, v4
	s_delay_alu instid0(VALU_DEP_1) | instskip(SKIP_1) | instid1(VALU_DEP_2)
	v_subrev_nc_u32_e32 v6, s16, v4
	v_cmp_le_u32_e32 vcc_lo, s16, v4
	v_dual_cndmask_b32 v4, v4, v6 :: v_dual_cndmask_b32 v3, v3, v5
	s_delay_alu instid0(VALU_DEP_1) | instskip(NEXT) | instid1(VALU_DEP_2)
	v_cmp_le_u32_e32 vcc_lo, s16, v4
	v_add_nc_u32_e32 v5, 1, v3
	s_delay_alu instid0(VALU_DEP_1)
	v_dual_cndmask_b32 v4, v3, v5 :: v_dual_mov_b32 v5, v2
.LBB13_9:                               ;   in Loop: Header=BB13_4 Depth=1
	s_or_b32 exec_lo, exec_lo, s0
	s_delay_alu instid0(VALU_DEP_1)
	v_mul_u64_e32 v[4:5], s[18:19], v[4:5]
.LBB13_10:                              ;   in Loop: Header=BB13_4 Depth=1
	v_lshl_add_u64 v[6:7], v[0:1], 1, s[6:7]
	v_cmp_ne_u32_e64 s0, 1, v18
	s_and_not1_b32 vcc_lo, exec_lo, s26
	s_mov_b32 s2, -1
                                        ; implicit-def: $vgpr8_vgpr9
	global_load_u16 v3, v[6:7], off
	s_wait_xcnt 0x0
	v_add_nc_u64_e32 v[6:7], s[18:19], v[4:5]
	s_cbranch_vccnz .LBB13_20
; %bb.11:                               ;   in Loop: Header=BB13_4 Depth=1
	v_mov_b64_e32 v[8:9], v[4:5]
	s_and_b32 vcc_lo, exec_lo, s0
	s_cbranch_vccnz .LBB13_19
; %bb.12:                               ;   in Loop: Header=BB13_4 Depth=1
	v_mov_b64_e32 v[8:9], v[4:5]
	s_delay_alu instid0(VALU_DEP_3)
	v_mov_b64_e32 v[12:13], v[6:7]
	v_lshl_add_u64 v[10:11], v[4:5], 1, s[8:9]
	s_mov_b32 s0, 0
	s_branch .LBB13_14
.LBB13_13:                              ;   in Loop: Header=BB13_14 Depth=2
	global_load_u16 v20, v[16:17], off
	s_wait_xcnt 0x0
	v_add_nc_u64_e32 v[16:17], 1, v[14:15]
	s_wait_loadcnt 0x0
	v_cmp_lt_i16_e32 vcc_lo, v20, v3
	v_dual_cndmask_b32 v13, v15, v13 :: v_dual_cndmask_b32 v12, v14, v12
	s_delay_alu instid0(VALU_DEP_3) | instskip(NEXT) | instid1(VALU_DEP_1)
	v_dual_cndmask_b32 v9, v9, v17 :: v_dual_cndmask_b32 v8, v8, v16
	v_cmp_ge_i64_e32 vcc_lo, v[8:9], v[12:13]
	s_or_b32 s0, vcc_lo, s0
	s_delay_alu instid0(SALU_CYCLE_1)
	s_and_not1_b32 exec_lo, exec_lo, s0
	s_cbranch_execz .LBB13_18
.LBB13_14:                              ;   Parent Loop BB13_4 Depth=1
                                        ; =>  This Inner Loop Header: Depth=2
	s_delay_alu instid0(VALU_DEP_2) | instskip(SKIP_1) | instid1(VALU_DEP_1)
	v_sub_nc_u64_e32 v[14:15], v[12:13], v[8:9]
	s_and_not1_b32 vcc_lo, exec_lo, s1
	v_lshrrev_b64 v[14:15], 1, v[14:15]
	s_delay_alu instid0(VALU_DEP_1)
	v_add_nc_u64_e32 v[14:15], v[14:15], v[8:9]
	s_cbranch_vccnz .LBB13_16
; %bb.15:                               ;   in Loop: Header=BB13_14 Depth=2
	s_delay_alu instid0(VALU_DEP_1)
	v_lshl_add_u64 v[16:17], v[14:15], 3, s[10:11]
	global_load_b64 v[16:17], v[16:17], off
	s_wait_loadcnt 0x0
	s_wait_xcnt 0x0
	v_lshl_add_u64 v[16:17], v[16:17], 1, v[10:11]
	s_cbranch_execnz .LBB13_13
	s_branch .LBB13_17
.LBB13_16:                              ;   in Loop: Header=BB13_14 Depth=2
                                        ; implicit-def: $vgpr16_vgpr17
.LBB13_17:                              ;   in Loop: Header=BB13_14 Depth=2
	s_delay_alu instid0(VALU_DEP_1)
	v_lshl_add_u64 v[16:17], v[14:15], 1, s[8:9]
	s_branch .LBB13_13
.LBB13_18:                              ;   in Loop: Header=BB13_4 Depth=1
	s_or_b32 exec_lo, exec_lo, s0
.LBB13_19:                              ;   in Loop: Header=BB13_4 Depth=1
	s_mov_b32 s2, 0
.LBB13_20:                              ;   in Loop: Header=BB13_4 Depth=1
	s_delay_alu instid0(SALU_CYCLE_1)
	s_and_not1_b32 vcc_lo, exec_lo, s2
	s_cbranch_vccnz .LBB13_3
; %bb.21:                               ;   in Loop: Header=BB13_4 Depth=1
	v_mov_b64_e32 v[8:9], v[4:5]
	s_and_not1_b32 vcc_lo, exec_lo, s28
	s_cbranch_vccnz .LBB13_3
; %bb.22:                               ;   in Loop: Header=BB13_4 Depth=1
	v_mov_b64_e32 v[8:9], v[4:5]
	v_lshl_add_u64 v[10:11], v[4:5], 1, s[8:9]
	s_mov_b32 s0, 0
	s_branch .LBB13_24
.LBB13_23:                              ;   in Loop: Header=BB13_24 Depth=2
	global_load_u16 v5, v[14:15], off
	s_wait_xcnt 0x0
	v_add_nc_u64_e32 v[14:15], 1, v[12:13]
	s_wait_loadcnt 0x0
	v_cmp_gt_i16_e32 vcc_lo, v5, v3
	v_dual_cndmask_b32 v7, v7, v13 :: v_dual_cndmask_b32 v6, v6, v12
	s_delay_alu instid0(VALU_DEP_3) | instskip(NEXT) | instid1(VALU_DEP_1)
	v_dual_cndmask_b32 v9, v15, v9 :: v_dual_cndmask_b32 v8, v14, v8
	v_cmp_ge_i64_e32 vcc_lo, v[8:9], v[6:7]
	s_or_b32 s0, vcc_lo, s0
	s_delay_alu instid0(SALU_CYCLE_1)
	s_and_not1_b32 exec_lo, exec_lo, s0
	s_cbranch_execz .LBB13_2
.LBB13_24:                              ;   Parent Loop BB13_4 Depth=1
                                        ; =>  This Inner Loop Header: Depth=2
	s_delay_alu instid0(VALU_DEP_2) | instskip(SKIP_1) | instid1(VALU_DEP_1)
	v_sub_nc_u64_e32 v[12:13], v[6:7], v[8:9]
	s_and_not1_b32 vcc_lo, exec_lo, s1
	v_lshrrev_b64 v[12:13], 1, v[12:13]
	s_delay_alu instid0(VALU_DEP_1)
	v_add_nc_u64_e32 v[12:13], v[12:13], v[8:9]
	s_cbranch_vccnz .LBB13_26
; %bb.25:                               ;   in Loop: Header=BB13_24 Depth=2
	s_delay_alu instid0(VALU_DEP_1)
	v_lshl_add_u64 v[14:15], v[12:13], 3, s[10:11]
	global_load_b64 v[14:15], v[14:15], off
	s_wait_loadcnt 0x0
	s_wait_xcnt 0x0
	v_lshl_add_u64 v[14:15], v[14:15], 1, v[10:11]
	s_cbranch_execnz .LBB13_23
	s_branch .LBB13_27
.LBB13_26:                              ;   in Loop: Header=BB13_24 Depth=2
                                        ; implicit-def: $vgpr14_vgpr15
.LBB13_27:                              ;   in Loop: Header=BB13_24 Depth=2
	s_delay_alu instid0(VALU_DEP_1)
	v_lshl_add_u64 v[14:15], v[12:13], 1, s[8:9]
	s_branch .LBB13_23
.LBB13_28:
	s_endpgm
	.section	.rodata,"a",@progbits
	.p2align	6, 0x0
	.amdhsa_kernel _ZN2at6native12_GLOBAL__N_124searchsorted_cuda_kernelIsiEEvPT0_PKT_S7_PKllllbb
		.amdhsa_group_segment_fixed_size 0
		.amdhsa_private_segment_fixed_size 0
		.amdhsa_kernarg_size 320
		.amdhsa_user_sgpr_count 2
		.amdhsa_user_sgpr_dispatch_ptr 0
		.amdhsa_user_sgpr_queue_ptr 0
		.amdhsa_user_sgpr_kernarg_segment_ptr 1
		.amdhsa_user_sgpr_dispatch_id 0
		.amdhsa_user_sgpr_kernarg_preload_length 0
		.amdhsa_user_sgpr_kernarg_preload_offset 0
		.amdhsa_user_sgpr_private_segment_size 0
		.amdhsa_wavefront_size32 1
		.amdhsa_uses_dynamic_stack 0
		.amdhsa_enable_private_segment 0
		.amdhsa_system_sgpr_workgroup_id_x 1
		.amdhsa_system_sgpr_workgroup_id_y 0
		.amdhsa_system_sgpr_workgroup_id_z 0
		.amdhsa_system_sgpr_workgroup_info 0
		.amdhsa_system_vgpr_workitem_id 0
		.amdhsa_next_free_vgpr 21
		.amdhsa_next_free_sgpr 42
		.amdhsa_named_barrier_count 0
		.amdhsa_reserve_vcc 1
		.amdhsa_float_round_mode_32 0
		.amdhsa_float_round_mode_16_64 0
		.amdhsa_float_denorm_mode_32 3
		.amdhsa_float_denorm_mode_16_64 3
		.amdhsa_fp16_overflow 0
		.amdhsa_memory_ordered 1
		.amdhsa_forward_progress 1
		.amdhsa_inst_pref_size 12
		.amdhsa_round_robin_scheduling 0
		.amdhsa_exception_fp_ieee_invalid_op 0
		.amdhsa_exception_fp_denorm_src 0
		.amdhsa_exception_fp_ieee_div_zero 0
		.amdhsa_exception_fp_ieee_overflow 0
		.amdhsa_exception_fp_ieee_underflow 0
		.amdhsa_exception_fp_ieee_inexact 0
		.amdhsa_exception_int_div_zero 0
	.end_amdhsa_kernel
	.section	.text._ZN2at6native12_GLOBAL__N_124searchsorted_cuda_kernelIsiEEvPT0_PKT_S7_PKllllbb,"axG",@progbits,_ZN2at6native12_GLOBAL__N_124searchsorted_cuda_kernelIsiEEvPT0_PKT_S7_PKllllbb,comdat
.Lfunc_end13:
	.size	_ZN2at6native12_GLOBAL__N_124searchsorted_cuda_kernelIsiEEvPT0_PKT_S7_PKllllbb, .Lfunc_end13-_ZN2at6native12_GLOBAL__N_124searchsorted_cuda_kernelIsiEEvPT0_PKT_S7_PKllllbb
                                        ; -- End function
	.set _ZN2at6native12_GLOBAL__N_124searchsorted_cuda_kernelIsiEEvPT0_PKT_S7_PKllllbb.num_vgpr, 21
	.set _ZN2at6native12_GLOBAL__N_124searchsorted_cuda_kernelIsiEEvPT0_PKT_S7_PKllllbb.num_agpr, 0
	.set _ZN2at6native12_GLOBAL__N_124searchsorted_cuda_kernelIsiEEvPT0_PKT_S7_PKllllbb.numbered_sgpr, 42
	.set _ZN2at6native12_GLOBAL__N_124searchsorted_cuda_kernelIsiEEvPT0_PKT_S7_PKllllbb.num_named_barrier, 0
	.set _ZN2at6native12_GLOBAL__N_124searchsorted_cuda_kernelIsiEEvPT0_PKT_S7_PKllllbb.private_seg_size, 0
	.set _ZN2at6native12_GLOBAL__N_124searchsorted_cuda_kernelIsiEEvPT0_PKT_S7_PKllllbb.uses_vcc, 1
	.set _ZN2at6native12_GLOBAL__N_124searchsorted_cuda_kernelIsiEEvPT0_PKT_S7_PKllllbb.uses_flat_scratch, 0
	.set _ZN2at6native12_GLOBAL__N_124searchsorted_cuda_kernelIsiEEvPT0_PKT_S7_PKllllbb.has_dyn_sized_stack, 0
	.set _ZN2at6native12_GLOBAL__N_124searchsorted_cuda_kernelIsiEEvPT0_PKT_S7_PKllllbb.has_recursion, 0
	.set _ZN2at6native12_GLOBAL__N_124searchsorted_cuda_kernelIsiEEvPT0_PKT_S7_PKllllbb.has_indirect_call, 0
	.section	.AMDGPU.csdata,"",@progbits
; Kernel info:
; codeLenInByte = 1516
; TotalNumSgprs: 44
; NumVgprs: 21
; ScratchSize: 0
; MemoryBound: 0
; FloatMode: 240
; IeeeMode: 1
; LDSByteSize: 0 bytes/workgroup (compile time only)
; SGPRBlocks: 0
; VGPRBlocks: 1
; NumSGPRsForWavesPerEU: 44
; NumVGPRsForWavesPerEU: 21
; NamedBarCnt: 0
; Occupancy: 16
; WaveLimiterHint : 0
; COMPUTE_PGM_RSRC2:SCRATCH_EN: 0
; COMPUTE_PGM_RSRC2:USER_SGPR: 2
; COMPUTE_PGM_RSRC2:TRAP_HANDLER: 0
; COMPUTE_PGM_RSRC2:TGID_X_EN: 1
; COMPUTE_PGM_RSRC2:TGID_Y_EN: 0
; COMPUTE_PGM_RSRC2:TGID_Z_EN: 0
; COMPUTE_PGM_RSRC2:TIDIG_COMP_CNT: 0
	.section	.text._ZN2at6native12_GLOBAL__N_124searchsorted_cuda_kernelIdiEEvPT0_PKT_S7_PKllllbb,"axG",@progbits,_ZN2at6native12_GLOBAL__N_124searchsorted_cuda_kernelIdiEEvPT0_PKT_S7_PKllllbb,comdat
	.globl	_ZN2at6native12_GLOBAL__N_124searchsorted_cuda_kernelIdiEEvPT0_PKT_S7_PKllllbb ; -- Begin function _ZN2at6native12_GLOBAL__N_124searchsorted_cuda_kernelIdiEEvPT0_PKT_S7_PKllllbb
	.p2align	8
	.type	_ZN2at6native12_GLOBAL__N_124searchsorted_cuda_kernelIdiEEvPT0_PKT_S7_PKllllbb,@function
_ZN2at6native12_GLOBAL__N_124searchsorted_cuda_kernelIdiEEvPT0_PKT_S7_PKllllbb: ; @_ZN2at6native12_GLOBAL__N_124searchsorted_cuda_kernelIdiEEvPT0_PKT_S7_PKllllbb
; %bb.0:
	s_clause 0x1
	s_load_b32 s2, s[0:1], 0x4c
	s_load_b128 s[12:15], s[0:1], 0x30
	s_bfe_u32 s3, ttmp6, 0x4000c
	v_mov_b32_e32 v2, 0
	s_add_co_i32 s3, s3, 1
	s_and_b32 s4, ttmp6, 15
	s_mul_i32 s3, ttmp9, s3
	s_getreg_b32 s5, hwreg(HW_REG_IB_STS2, 6, 4)
	v_mov_b32_e32 v1, v2
	s_add_co_i32 s4, s4, s3
	s_wait_kmcnt 0x0
	s_and_b32 s2, s2, 0xffff
	s_cmp_eq_u32 s5, 0
	s_cselect_b32 s3, ttmp9, s4
	s_mov_b32 s4, exec_lo
	v_mad_nc_u64_u32 v[0:1], s2, s3, v[0:1]
	s_mov_b32 s3, 0
	s_delay_alu instid0(VALU_DEP_1)
	v_cmpx_gt_i64_e64 s[12:13], v[0:1]
	s_cbranch_execz .LBB14_28
; %bb.1:
	s_clause 0x2
	s_load_b128 s[16:19], s[0:1], 0x20
	s_load_b32 s14, s[0:1], 0x38
	s_load_b256 s[4:11], s[0:1], 0x0
	s_mov_b32 s21, s3
	s_mov_b32 s29, 0
	s_wait_kmcnt 0x0
	v_cvt_f32_u32_e32 v3, s16
	s_bitcmp1_b32 s14, 0
	v_cmp_gt_i64_e64 s28, s[18:19], 0
	s_cselect_b32 s15, -1, 0
	v_rcp_iflag_f32_e32 v3, v3
	s_xor_b32 s26, s15, -1
	s_bitcmp1_b32 s14, 8
	s_cselect_b32 s14, -1, 0
	v_cndmask_b32_e64 v20, 0, 1, s28
	s_xor_b32 s27, s14, -1
	s_delay_alu instid0(TRANS32_DEP_1)
	v_mul_f32_e32 v3, 0x4f7ffffe, v3
	s_cmp_lg_u64 s[10:11], 0
	s_add_nc_u64 s[14:15], s[0:1], 64
	s_cselect_b32 s1, -1, 0
	s_sub_co_i32 s0, 0, s16
	v_cvt_u32_f32_e32 v3, v3
	s_load_b32 s20, s[14:15], 0x0
	s_wait_xcnt 0x0
	s_mov_b64 s[14:15], 0xffffffff
	s_ashr_i32 s22, s17, 31
	v_mul_lo_u32 v4, s0, v3
	s_delay_alu instid0(VALU_DEP_1) | instskip(SKIP_2) | instid1(VALU_DEP_1)
	v_mul_hi_u32 v4, v3, v4
	s_wait_kmcnt 0x0
	s_mul_i32 s20, s20, s2
	v_add_nc_u32_e32 v21, v3, v4
	s_branch .LBB14_4
.LBB14_2:                               ;   in Loop: Header=BB14_4 Depth=1
	s_or_b32 exec_lo, exec_lo, s0
.LBB14_3:                               ;   in Loop: Header=BB14_4 Depth=1
	s_wait_loadcnt 0x0
	s_wait_xcnt 0x0
	v_lshl_add_u64 v[6:7], v[0:1], 2, s[4:5]
	v_add_nc_u64_e32 v[0:1], s[20:21], v[0:1]
	v_sub_nc_u32_e32 v3, v10, v4
	global_store_b32 v[6:7], v3, off
	v_cmp_le_i64_e32 vcc_lo, s[12:13], v[0:1]
	s_or_b32 s29, vcc_lo, s29
	s_wait_xcnt 0x0
	s_and_not1_b32 exec_lo, exec_lo, s29
	s_cbranch_execz .LBB14_28
.LBB14_4:                               ; =>This Loop Header: Depth=1
                                        ;     Child Loop BB14_14 Depth 2
                                        ;     Child Loop BB14_24 Depth 2
	v_mov_b64_e32 v[4:5], 0
	s_and_not1_b32 vcc_lo, exec_lo, s27
	s_cbranch_vccnz .LBB14_10
; %bb.5:                                ;   in Loop: Header=BB14_4 Depth=1
	v_or_b32_e32 v3, s17, v1
                                        ; implicit-def: $vgpr4_vgpr5
	s_mov_b32 s0, exec_lo
	s_delay_alu instid0(VALU_DEP_1)
	v_cmpx_ne_u64_e32 0, v[2:3]
	s_xor_b32 s30, exec_lo, s0
	s_cbranch_execz .LBB14_7
; %bb.6:                                ;   in Loop: Header=BB14_4 Depth=1
	s_mov_b32 s23, s22
	v_dual_mov_b32 v9, v2 :: v_dual_ashrrev_i32 v4, 31, v1
	s_add_nc_u64 s[24:25], s[16:17], s[22:23]
	s_delay_alu instid0(SALU_CYCLE_1) | instskip(NEXT) | instid1(VALU_DEP_1)
	s_xor_b64 s[24:25], s[24:25], s[22:23]
	v_mov_b32_e32 v5, v4
	s_cvt_f32_u32 s0, s24
	s_cvt_f32_u32 s2, s25
	s_sub_nc_u64 s[36:37], 0, s[24:25]
	s_delay_alu instid0(VALU_DEP_1) | instskip(NEXT) | instid1(SALU_CYCLE_1)
	v_add_nc_u64_e32 v[6:7], v[0:1], v[4:5]
	s_fmamk_f32 s0, s2, 0x4f800000, s0
	v_mov_b32_e32 v13, v2
	s_delay_alu instid0(SALU_CYCLE_2) | instskip(NEXT) | instid1(VALU_DEP_2)
	v_s_rcp_f32 s0, s0
	v_xor_b32_e32 v8, v6, v4
	s_delay_alu instid0(VALU_DEP_3) | instskip(SKIP_1) | instid1(TRANS32_DEP_1)
	v_dual_mov_b32 v17, v2 :: v_dual_bitop2_b32 v12, v7, v4 bitop3:0x14
	v_xor_b32_e32 v4, s22, v4
	s_mul_f32 s0, s0, 0x5f7ffffc
	s_delay_alu instid0(SALU_CYCLE_3) | instskip(NEXT) | instid1(SALU_CYCLE_3)
	s_mul_f32 s2, s0, 0x2f800000
	s_trunc_f32 s2, s2
	s_delay_alu instid0(SALU_CYCLE_3) | instskip(SKIP_1) | instid1(SALU_CYCLE_2)
	s_fmamk_f32 s0, s2, 0xcf800000, s0
	s_cvt_u32_f32 s35, s2
	s_cvt_u32_f32 s34, s0
	s_delay_alu instid0(SALU_CYCLE_3) | instskip(NEXT) | instid1(SALU_CYCLE_1)
	s_mul_u64 s[38:39], s[36:37], s[34:35]
	s_mul_hi_u32 s41, s34, s39
	s_mul_i32 s40, s34, s39
	s_mul_hi_u32 s2, s34, s38
	s_mul_i32 s23, s35, s38
	s_add_nc_u64 s[40:41], s[2:3], s[40:41]
	s_mul_hi_u32 s0, s35, s38
	s_mul_hi_u32 s31, s35, s39
	s_add_co_u32 s2, s40, s23
	s_add_co_ci_u32 s2, s41, s0
	s_mul_i32 s38, s35, s39
	s_add_co_ci_u32 s39, s31, 0
	s_delay_alu instid0(SALU_CYCLE_1) | instskip(NEXT) | instid1(SALU_CYCLE_1)
	s_add_nc_u64 s[38:39], s[2:3], s[38:39]
	s_add_co_u32 s34, s34, s38
	s_cselect_b32 s0, -1, 0
	s_delay_alu instid0(SALU_CYCLE_1) | instskip(SKIP_1) | instid1(SALU_CYCLE_1)
	s_cmp_lg_u32 s0, 0
	s_add_co_ci_u32 s35, s35, s39
	s_mul_u64 s[36:37], s[36:37], s[34:35]
	s_delay_alu instid0(SALU_CYCLE_1)
	s_mul_hi_u32 s39, s34, s37
	s_mul_i32 s38, s34, s37
	s_mul_hi_u32 s2, s34, s36
	s_mul_i32 s23, s35, s36
	s_add_nc_u64 s[38:39], s[2:3], s[38:39]
	s_mul_hi_u32 s0, s35, s36
	s_mul_hi_u32 s31, s35, s37
	s_add_co_u32 s2, s38, s23
	s_add_co_ci_u32 s2, s39, s0
	s_mul_i32 s36, s35, s37
	s_add_co_ci_u32 s37, s31, 0
	s_delay_alu instid0(SALU_CYCLE_1) | instskip(NEXT) | instid1(SALU_CYCLE_1)
	s_add_nc_u64 s[36:37], s[2:3], s[36:37]
	s_add_co_u32 s0, s34, s36
	s_cselect_b32 s2, -1, 0
	v_mul_hi_u32 v16, v8, s0
	s_cmp_lg_u32 s2, 0
	s_add_co_ci_u32 s2, s35, s37
	s_and_b64 s[34:35], s[0:1], s[14:15]
	v_mul_u64_e32 v[10:11], s[2:3], v[8:9]
	v_mul_u64_e32 v[6:7], s[34:35], v[12:13]
	;; [unrolled: 1-line block ×3, first 2 shown]
	s_delay_alu instid0(VALU_DEP_3) | instskip(NEXT) | instid1(VALU_DEP_1)
	v_add_nc_u64_e32 v[10:11], v[16:17], v[10:11]
	v_add_co_u32 v3, vcc_lo, v10, v6
	s_delay_alu instid0(VALU_DEP_2) | instskip(NEXT) | instid1(VALU_DEP_4)
	v_add_co_ci_u32_e32 v16, vcc_lo, v11, v7, vcc_lo
	v_add_co_ci_u32_e32 v15, vcc_lo, 0, v15, vcc_lo
	s_delay_alu instid0(VALU_DEP_1) | instskip(NEXT) | instid1(VALU_DEP_1)
	v_add_nc_u64_e32 v[6:7], v[16:17], v[14:15]
	v_mul_u64_e32 v[10:11], s[24:25], v[6:7]
	s_delay_alu instid0(VALU_DEP_1) | instskip(NEXT) | instid1(VALU_DEP_2)
	v_sub_nc_u32_e32 v3, v12, v11
	v_sub_co_u32 v5, vcc_lo, v8, v10
	s_delay_alu instid0(VALU_DEP_1) | instskip(NEXT) | instid1(VALU_DEP_3)
	v_sub_co_ci_u32_e64 v12, null, v12, v11, vcc_lo
	v_subrev_co_ci_u32_e64 v3, null, s25, v3, vcc_lo
	s_delay_alu instid0(VALU_DEP_3) | instskip(SKIP_1) | instid1(VALU_DEP_3)
	v_sub_co_u32 v8, s0, v5, s24
	v_add_nc_u64_e32 v[10:11], 1, v[6:7]
	v_subrev_co_ci_u32_e64 v3, null, 0, v3, s0
	s_delay_alu instid0(VALU_DEP_3) | instskip(SKIP_1) | instid1(VALU_DEP_3)
	v_cmp_le_u32_e32 vcc_lo, s24, v8
	v_cndmask_b32_e64 v8, 0, -1, vcc_lo
	v_cmp_le_u32_e32 vcc_lo, s25, v3
	v_cndmask_b32_e64 v9, 0, -1, vcc_lo
	;; [unrolled: 2-line block ×4, first 2 shown]
	v_cmp_eq_u32_e32 vcc_lo, s25, v3
	v_cndmask_b32_e32 v3, v9, v8, vcc_lo
	v_cmp_eq_u32_e32 vcc_lo, s25, v12
	v_add_nc_u64_e32 v[8:9], 2, v[6:7]
	v_cndmask_b32_e32 v5, v13, v5, vcc_lo
	s_delay_alu instid0(VALU_DEP_4) | instskip(NEXT) | instid1(VALU_DEP_2)
	v_cmp_ne_u32_e32 vcc_lo, 0, v3
	v_cmp_ne_u32_e64 s0, 0, v5
	s_delay_alu instid0(VALU_DEP_4) | instskip(NEXT) | instid1(VALU_DEP_1)
	v_dual_cndmask_b32 v3, v11, v9, vcc_lo :: v_dual_cndmask_b32 v5, v10, v8, vcc_lo
	v_dual_cndmask_b32 v6, v6, v5, s0 :: v_dual_mov_b32 v5, v4
	s_delay_alu instid0(VALU_DEP_1) | instskip(NEXT) | instid1(VALU_DEP_1)
	v_dual_cndmask_b32 v3, v7, v3, s0 :: v_dual_bitop2_b32 v6, v6, v4 bitop3:0x14
	v_xor_b32_e32 v7, v3, v4
	s_delay_alu instid0(VALU_DEP_1)
	v_sub_nc_u64_e32 v[4:5], v[6:7], v[4:5]
.LBB14_7:                               ;   in Loop: Header=BB14_4 Depth=1
	s_and_not1_saveexec_b32 s0, s30
	s_cbranch_execz .LBB14_9
; %bb.8:                                ;   in Loop: Header=BB14_4 Depth=1
	v_mul_hi_u32 v3, v0, v21
	s_delay_alu instid0(VALU_DEP_1) | instskip(NEXT) | instid1(VALU_DEP_1)
	v_mul_lo_u32 v4, v3, s16
	v_dual_add_nc_u32 v5, 1, v3 :: v_dual_sub_nc_u32 v4, v0, v4
	s_delay_alu instid0(VALU_DEP_1) | instskip(SKIP_1) | instid1(VALU_DEP_2)
	v_subrev_nc_u32_e32 v6, s16, v4
	v_cmp_le_u32_e32 vcc_lo, s16, v4
	v_dual_cndmask_b32 v4, v4, v6 :: v_dual_cndmask_b32 v3, v3, v5
	s_delay_alu instid0(VALU_DEP_1) | instskip(NEXT) | instid1(VALU_DEP_2)
	v_cmp_le_u32_e32 vcc_lo, s16, v4
	v_add_nc_u32_e32 v5, 1, v3
	s_delay_alu instid0(VALU_DEP_1)
	v_dual_cndmask_b32 v4, v3, v5 :: v_dual_mov_b32 v5, v2
.LBB14_9:                               ;   in Loop: Header=BB14_4 Depth=1
	s_or_b32 exec_lo, exec_lo, s0
	s_delay_alu instid0(VALU_DEP_1)
	v_mul_u64_e32 v[4:5], s[18:19], v[4:5]
.LBB14_10:                              ;   in Loop: Header=BB14_4 Depth=1
	v_lshl_add_u64 v[6:7], v[0:1], 3, s[6:7]
	s_delay_alu instid0(VALU_DEP_2)
	v_add_nc_u64_e32 v[8:9], s[18:19], v[4:5]
	v_cmp_ne_u32_e64 s0, 1, v20
	s_and_not1_b32 vcc_lo, exec_lo, s26
	s_mov_b32 s2, -1
	global_load_b64 v[6:7], v[6:7], off
                                        ; implicit-def: $vgpr10_vgpr11
	s_cbranch_vccnz .LBB14_20
; %bb.11:                               ;   in Loop: Header=BB14_4 Depth=1
	v_mov_b64_e32 v[10:11], v[4:5]
	s_and_b32 vcc_lo, exec_lo, s0
	s_cbranch_vccnz .LBB14_19
; %bb.12:                               ;   in Loop: Header=BB14_4 Depth=1
	v_mov_b64_e32 v[10:11], v[4:5]
	v_mov_b64_e32 v[14:15], v[8:9]
	v_lshl_add_u64 v[12:13], v[4:5], 3, s[8:9]
	s_mov_b32 s0, 0
	s_branch .LBB14_14
.LBB14_13:                              ;   in Loop: Header=BB14_14 Depth=2
	global_load_b64 v[18:19], v[18:19], off
	s_wait_loadcnt 0x0
	v_cmp_nge_f64_e32 vcc_lo, v[18:19], v[6:7]
	s_wait_xcnt 0x0
	v_add_nc_u64_e32 v[18:19], 1, v[16:17]
	v_dual_cndmask_b32 v15, v17, v15 :: v_dual_cndmask_b32 v14, v16, v14
	s_delay_alu instid0(VALU_DEP_2) | instskip(NEXT) | instid1(VALU_DEP_1)
	v_dual_cndmask_b32 v11, v11, v19 :: v_dual_cndmask_b32 v10, v10, v18
	v_cmp_ge_i64_e32 vcc_lo, v[10:11], v[14:15]
	s_or_b32 s0, vcc_lo, s0
	s_delay_alu instid0(SALU_CYCLE_1)
	s_and_not1_b32 exec_lo, exec_lo, s0
	s_cbranch_execz .LBB14_18
.LBB14_14:                              ;   Parent Loop BB14_4 Depth=1
                                        ; =>  This Inner Loop Header: Depth=2
	s_delay_alu instid0(VALU_DEP_2) | instskip(SKIP_1) | instid1(VALU_DEP_1)
	v_sub_nc_u64_e32 v[16:17], v[14:15], v[10:11]
	s_and_not1_b32 vcc_lo, exec_lo, s1
	v_lshrrev_b64 v[16:17], 1, v[16:17]
	s_delay_alu instid0(VALU_DEP_1)
	v_add_nc_u64_e32 v[16:17], v[16:17], v[10:11]
	s_cbranch_vccnz .LBB14_16
; %bb.15:                               ;   in Loop: Header=BB14_14 Depth=2
	s_delay_alu instid0(VALU_DEP_1)
	v_lshl_add_u64 v[18:19], v[16:17], 3, s[10:11]
	global_load_b64 v[18:19], v[18:19], off
	s_wait_loadcnt 0x0
	s_wait_xcnt 0x0
	v_lshl_add_u64 v[18:19], v[18:19], 3, v[12:13]
	s_cbranch_execnz .LBB14_13
	s_branch .LBB14_17
.LBB14_16:                              ;   in Loop: Header=BB14_14 Depth=2
                                        ; implicit-def: $vgpr18_vgpr19
.LBB14_17:                              ;   in Loop: Header=BB14_14 Depth=2
	s_delay_alu instid0(VALU_DEP_1)
	v_lshl_add_u64 v[18:19], v[16:17], 3, s[8:9]
	s_branch .LBB14_13
.LBB14_18:                              ;   in Loop: Header=BB14_4 Depth=1
	s_or_b32 exec_lo, exec_lo, s0
.LBB14_19:                              ;   in Loop: Header=BB14_4 Depth=1
	s_mov_b32 s2, 0
.LBB14_20:                              ;   in Loop: Header=BB14_4 Depth=1
	s_delay_alu instid0(SALU_CYCLE_1)
	s_and_not1_b32 vcc_lo, exec_lo, s2
	s_cbranch_vccnz .LBB14_3
; %bb.21:                               ;   in Loop: Header=BB14_4 Depth=1
	v_mov_b64_e32 v[10:11], v[4:5]
	s_and_not1_b32 vcc_lo, exec_lo, s28
	s_cbranch_vccnz .LBB14_3
; %bb.22:                               ;   in Loop: Header=BB14_4 Depth=1
	v_mov_b64_e32 v[10:11], v[4:5]
	v_lshl_add_u64 v[12:13], v[4:5], 3, s[8:9]
	s_mov_b32 s0, 0
	s_branch .LBB14_24
.LBB14_23:                              ;   in Loop: Header=BB14_24 Depth=2
	global_load_b64 v[16:17], v[16:17], off
	s_wait_loadcnt 0x0
	v_cmp_gt_f64_e32 vcc_lo, v[16:17], v[6:7]
	s_wait_xcnt 0x0
	v_add_nc_u64_e32 v[16:17], 1, v[14:15]
	v_dual_cndmask_b32 v9, v9, v15 :: v_dual_cndmask_b32 v8, v8, v14
	s_delay_alu instid0(VALU_DEP_2) | instskip(NEXT) | instid1(VALU_DEP_1)
	v_dual_cndmask_b32 v11, v17, v11 :: v_dual_cndmask_b32 v10, v16, v10
	v_cmp_ge_i64_e32 vcc_lo, v[10:11], v[8:9]
	s_or_b32 s0, vcc_lo, s0
	s_delay_alu instid0(SALU_CYCLE_1)
	s_and_not1_b32 exec_lo, exec_lo, s0
	s_cbranch_execz .LBB14_2
.LBB14_24:                              ;   Parent Loop BB14_4 Depth=1
                                        ; =>  This Inner Loop Header: Depth=2
	s_delay_alu instid0(VALU_DEP_2) | instskip(SKIP_1) | instid1(VALU_DEP_1)
	v_sub_nc_u64_e32 v[14:15], v[8:9], v[10:11]
	s_and_not1_b32 vcc_lo, exec_lo, s1
	v_lshrrev_b64 v[14:15], 1, v[14:15]
	s_delay_alu instid0(VALU_DEP_1)
	v_add_nc_u64_e32 v[14:15], v[14:15], v[10:11]
	s_cbranch_vccnz .LBB14_26
; %bb.25:                               ;   in Loop: Header=BB14_24 Depth=2
	s_delay_alu instid0(VALU_DEP_1)
	v_lshl_add_u64 v[16:17], v[14:15], 3, s[10:11]
	global_load_b64 v[16:17], v[16:17], off
	s_wait_loadcnt 0x0
	s_wait_xcnt 0x0
	v_lshl_add_u64 v[16:17], v[16:17], 3, v[12:13]
	s_cbranch_execnz .LBB14_23
	s_branch .LBB14_27
.LBB14_26:                              ;   in Loop: Header=BB14_24 Depth=2
                                        ; implicit-def: $vgpr16_vgpr17
.LBB14_27:                              ;   in Loop: Header=BB14_24 Depth=2
	s_delay_alu instid0(VALU_DEP_1)
	v_lshl_add_u64 v[16:17], v[14:15], 3, s[8:9]
	s_branch .LBB14_23
.LBB14_28:
	s_endpgm
	.section	.rodata,"a",@progbits
	.p2align	6, 0x0
	.amdhsa_kernel _ZN2at6native12_GLOBAL__N_124searchsorted_cuda_kernelIdiEEvPT0_PKT_S7_PKllllbb
		.amdhsa_group_segment_fixed_size 0
		.amdhsa_private_segment_fixed_size 0
		.amdhsa_kernarg_size 320
		.amdhsa_user_sgpr_count 2
		.amdhsa_user_sgpr_dispatch_ptr 0
		.amdhsa_user_sgpr_queue_ptr 0
		.amdhsa_user_sgpr_kernarg_segment_ptr 1
		.amdhsa_user_sgpr_dispatch_id 0
		.amdhsa_user_sgpr_kernarg_preload_length 0
		.amdhsa_user_sgpr_kernarg_preload_offset 0
		.amdhsa_user_sgpr_private_segment_size 0
		.amdhsa_wavefront_size32 1
		.amdhsa_uses_dynamic_stack 0
		.amdhsa_enable_private_segment 0
		.amdhsa_system_sgpr_workgroup_id_x 1
		.amdhsa_system_sgpr_workgroup_id_y 0
		.amdhsa_system_sgpr_workgroup_id_z 0
		.amdhsa_system_sgpr_workgroup_info 0
		.amdhsa_system_vgpr_workitem_id 0
		.amdhsa_next_free_vgpr 22
		.amdhsa_next_free_sgpr 42
		.amdhsa_named_barrier_count 0
		.amdhsa_reserve_vcc 1
		.amdhsa_float_round_mode_32 0
		.amdhsa_float_round_mode_16_64 0
		.amdhsa_float_denorm_mode_32 3
		.amdhsa_float_denorm_mode_16_64 3
		.amdhsa_fp16_overflow 0
		.amdhsa_memory_ordered 1
		.amdhsa_forward_progress 1
		.amdhsa_inst_pref_size 12
		.amdhsa_round_robin_scheduling 0
		.amdhsa_exception_fp_ieee_invalid_op 0
		.amdhsa_exception_fp_denorm_src 0
		.amdhsa_exception_fp_ieee_div_zero 0
		.amdhsa_exception_fp_ieee_overflow 0
		.amdhsa_exception_fp_ieee_underflow 0
		.amdhsa_exception_fp_ieee_inexact 0
		.amdhsa_exception_int_div_zero 0
	.end_amdhsa_kernel
	.section	.text._ZN2at6native12_GLOBAL__N_124searchsorted_cuda_kernelIdiEEvPT0_PKT_S7_PKllllbb,"axG",@progbits,_ZN2at6native12_GLOBAL__N_124searchsorted_cuda_kernelIdiEEvPT0_PKT_S7_PKllllbb,comdat
.Lfunc_end14:
	.size	_ZN2at6native12_GLOBAL__N_124searchsorted_cuda_kernelIdiEEvPT0_PKT_S7_PKllllbb, .Lfunc_end14-_ZN2at6native12_GLOBAL__N_124searchsorted_cuda_kernelIdiEEvPT0_PKT_S7_PKllllbb
                                        ; -- End function
	.set _ZN2at6native12_GLOBAL__N_124searchsorted_cuda_kernelIdiEEvPT0_PKT_S7_PKllllbb.num_vgpr, 22
	.set _ZN2at6native12_GLOBAL__N_124searchsorted_cuda_kernelIdiEEvPT0_PKT_S7_PKllllbb.num_agpr, 0
	.set _ZN2at6native12_GLOBAL__N_124searchsorted_cuda_kernelIdiEEvPT0_PKT_S7_PKllllbb.numbered_sgpr, 42
	.set _ZN2at6native12_GLOBAL__N_124searchsorted_cuda_kernelIdiEEvPT0_PKT_S7_PKllllbb.num_named_barrier, 0
	.set _ZN2at6native12_GLOBAL__N_124searchsorted_cuda_kernelIdiEEvPT0_PKT_S7_PKllllbb.private_seg_size, 0
	.set _ZN2at6native12_GLOBAL__N_124searchsorted_cuda_kernelIdiEEvPT0_PKT_S7_PKllllbb.uses_vcc, 1
	.set _ZN2at6native12_GLOBAL__N_124searchsorted_cuda_kernelIdiEEvPT0_PKT_S7_PKllllbb.uses_flat_scratch, 0
	.set _ZN2at6native12_GLOBAL__N_124searchsorted_cuda_kernelIdiEEvPT0_PKT_S7_PKllllbb.has_dyn_sized_stack, 0
	.set _ZN2at6native12_GLOBAL__N_124searchsorted_cuda_kernelIdiEEvPT0_PKT_S7_PKllllbb.has_recursion, 0
	.set _ZN2at6native12_GLOBAL__N_124searchsorted_cuda_kernelIdiEEvPT0_PKT_S7_PKllllbb.has_indirect_call, 0
	.section	.AMDGPU.csdata,"",@progbits
; Kernel info:
; codeLenInByte = 1512
; TotalNumSgprs: 44
; NumVgprs: 22
; ScratchSize: 0
; MemoryBound: 0
; FloatMode: 240
; IeeeMode: 1
; LDSByteSize: 0 bytes/workgroup (compile time only)
; SGPRBlocks: 0
; VGPRBlocks: 1
; NumSGPRsForWavesPerEU: 44
; NumVGPRsForWavesPerEU: 22
; NamedBarCnt: 0
; Occupancy: 16
; WaveLimiterHint : 0
; COMPUTE_PGM_RSRC2:SCRATCH_EN: 0
; COMPUTE_PGM_RSRC2:USER_SGPR: 2
; COMPUTE_PGM_RSRC2:TRAP_HANDLER: 0
; COMPUTE_PGM_RSRC2:TGID_X_EN: 1
; COMPUTE_PGM_RSRC2:TGID_Y_EN: 0
; COMPUTE_PGM_RSRC2:TGID_Z_EN: 0
; COMPUTE_PGM_RSRC2:TIDIG_COMP_CNT: 0
	.section	.text._ZN2at6native12_GLOBAL__N_124searchsorted_cuda_kernelIfiEEvPT0_PKT_S7_PKllllbb,"axG",@progbits,_ZN2at6native12_GLOBAL__N_124searchsorted_cuda_kernelIfiEEvPT0_PKT_S7_PKllllbb,comdat
	.globl	_ZN2at6native12_GLOBAL__N_124searchsorted_cuda_kernelIfiEEvPT0_PKT_S7_PKllllbb ; -- Begin function _ZN2at6native12_GLOBAL__N_124searchsorted_cuda_kernelIfiEEvPT0_PKT_S7_PKllllbb
	.p2align	8
	.type	_ZN2at6native12_GLOBAL__N_124searchsorted_cuda_kernelIfiEEvPT0_PKT_S7_PKllllbb,@function
_ZN2at6native12_GLOBAL__N_124searchsorted_cuda_kernelIfiEEvPT0_PKT_S7_PKllllbb: ; @_ZN2at6native12_GLOBAL__N_124searchsorted_cuda_kernelIfiEEvPT0_PKT_S7_PKllllbb
; %bb.0:
	s_clause 0x1
	s_load_b32 s2, s[0:1], 0x4c
	s_load_b128 s[12:15], s[0:1], 0x30
	s_bfe_u32 s3, ttmp6, 0x4000c
	v_mov_b32_e32 v2, 0
	s_add_co_i32 s3, s3, 1
	s_and_b32 s4, ttmp6, 15
	s_mul_i32 s3, ttmp9, s3
	s_getreg_b32 s5, hwreg(HW_REG_IB_STS2, 6, 4)
	v_mov_b32_e32 v1, v2
	s_add_co_i32 s4, s4, s3
	s_wait_kmcnt 0x0
	s_and_b32 s2, s2, 0xffff
	s_cmp_eq_u32 s5, 0
	s_cselect_b32 s3, ttmp9, s4
	s_mov_b32 s4, exec_lo
	v_mad_nc_u64_u32 v[0:1], s2, s3, v[0:1]
	s_mov_b32 s3, 0
	s_delay_alu instid0(VALU_DEP_1)
	v_cmpx_gt_i64_e64 s[12:13], v[0:1]
	s_cbranch_execz .LBB15_28
; %bb.1:
	s_clause 0x2
	s_load_b128 s[16:19], s[0:1], 0x20
	s_load_b32 s14, s[0:1], 0x38
	s_load_b256 s[4:11], s[0:1], 0x0
	s_mov_b32 s21, s3
	s_mov_b32 s29, 0
	s_wait_kmcnt 0x0
	v_cvt_f32_u32_e32 v3, s16
	s_bitcmp1_b32 s14, 0
	v_cmp_gt_i64_e64 s28, s[18:19], 0
	s_cselect_b32 s15, -1, 0
	v_rcp_iflag_f32_e32 v3, v3
	s_xor_b32 s26, s15, -1
	s_bitcmp1_b32 s14, 8
	s_cselect_b32 s14, -1, 0
	v_cndmask_b32_e64 v18, 0, 1, s28
	s_xor_b32 s27, s14, -1
	s_delay_alu instid0(TRANS32_DEP_1)
	v_mul_f32_e32 v3, 0x4f7ffffe, v3
	s_cmp_lg_u64 s[10:11], 0
	s_add_nc_u64 s[14:15], s[0:1], 64
	s_cselect_b32 s1, -1, 0
	s_sub_co_i32 s0, 0, s16
	v_cvt_u32_f32_e32 v3, v3
	s_load_b32 s20, s[14:15], 0x0
	s_wait_xcnt 0x0
	s_mov_b64 s[14:15], 0xffffffff
	s_ashr_i32 s22, s17, 31
	v_mul_lo_u32 v4, s0, v3
	s_delay_alu instid0(VALU_DEP_1) | instskip(SKIP_2) | instid1(VALU_DEP_1)
	v_mul_hi_u32 v4, v3, v4
	s_wait_kmcnt 0x0
	s_mul_i32 s20, s20, s2
	v_add_nc_u32_e32 v19, v3, v4
	s_branch .LBB15_4
.LBB15_2:                               ;   in Loop: Header=BB15_4 Depth=1
	s_or_b32 exec_lo, exec_lo, s0
.LBB15_3:                               ;   in Loop: Header=BB15_4 Depth=1
	v_lshl_add_u64 v[6:7], v[0:1], 2, s[4:5]
	v_add_nc_u64_e32 v[0:1], s[20:21], v[0:1]
	s_wait_loadcnt 0x0
	s_delay_alu instid0(VALU_DEP_3)
	v_sub_nc_u32_e32 v3, v8, v4
	global_store_b32 v[6:7], v3, off
	v_cmp_le_i64_e32 vcc_lo, s[12:13], v[0:1]
	s_or_b32 s29, vcc_lo, s29
	s_wait_xcnt 0x0
	s_and_not1_b32 exec_lo, exec_lo, s29
	s_cbranch_execz .LBB15_28
.LBB15_4:                               ; =>This Loop Header: Depth=1
                                        ;     Child Loop BB15_14 Depth 2
                                        ;     Child Loop BB15_24 Depth 2
	v_mov_b64_e32 v[4:5], 0
	s_and_not1_b32 vcc_lo, exec_lo, s27
	s_cbranch_vccnz .LBB15_10
; %bb.5:                                ;   in Loop: Header=BB15_4 Depth=1
	v_or_b32_e32 v3, s17, v1
                                        ; implicit-def: $vgpr4_vgpr5
	s_mov_b32 s0, exec_lo
	s_delay_alu instid0(VALU_DEP_1)
	v_cmpx_ne_u64_e32 0, v[2:3]
	s_xor_b32 s30, exec_lo, s0
	s_cbranch_execz .LBB15_7
; %bb.6:                                ;   in Loop: Header=BB15_4 Depth=1
	s_mov_b32 s23, s22
	v_dual_mov_b32 v9, v2 :: v_dual_ashrrev_i32 v4, 31, v1
	s_add_nc_u64 s[24:25], s[16:17], s[22:23]
	s_delay_alu instid0(SALU_CYCLE_1) | instskip(NEXT) | instid1(VALU_DEP_1)
	s_xor_b64 s[24:25], s[24:25], s[22:23]
	v_mov_b32_e32 v5, v4
	s_cvt_f32_u32 s0, s24
	s_cvt_f32_u32 s2, s25
	s_sub_nc_u64 s[36:37], 0, s[24:25]
	s_delay_alu instid0(VALU_DEP_1) | instskip(NEXT) | instid1(SALU_CYCLE_1)
	v_add_nc_u64_e32 v[6:7], v[0:1], v[4:5]
	s_fmamk_f32 s0, s2, 0x4f800000, s0
	v_mov_b32_e32 v13, v2
	s_delay_alu instid0(SALU_CYCLE_2) | instskip(NEXT) | instid1(VALU_DEP_2)
	v_s_rcp_f32 s0, s0
	v_xor_b32_e32 v8, v6, v4
	s_delay_alu instid0(VALU_DEP_3) | instskip(SKIP_1) | instid1(TRANS32_DEP_1)
	v_dual_mov_b32 v17, v2 :: v_dual_bitop2_b32 v12, v7, v4 bitop3:0x14
	v_xor_b32_e32 v4, s22, v4
	s_mul_f32 s0, s0, 0x5f7ffffc
	s_delay_alu instid0(SALU_CYCLE_3) | instskip(NEXT) | instid1(SALU_CYCLE_3)
	s_mul_f32 s2, s0, 0x2f800000
	s_trunc_f32 s2, s2
	s_delay_alu instid0(SALU_CYCLE_3) | instskip(SKIP_1) | instid1(SALU_CYCLE_2)
	s_fmamk_f32 s0, s2, 0xcf800000, s0
	s_cvt_u32_f32 s35, s2
	s_cvt_u32_f32 s34, s0
	s_delay_alu instid0(SALU_CYCLE_3) | instskip(NEXT) | instid1(SALU_CYCLE_1)
	s_mul_u64 s[38:39], s[36:37], s[34:35]
	s_mul_hi_u32 s41, s34, s39
	s_mul_i32 s40, s34, s39
	s_mul_hi_u32 s2, s34, s38
	s_mul_i32 s23, s35, s38
	s_add_nc_u64 s[40:41], s[2:3], s[40:41]
	s_mul_hi_u32 s0, s35, s38
	s_mul_hi_u32 s31, s35, s39
	s_add_co_u32 s2, s40, s23
	s_add_co_ci_u32 s2, s41, s0
	s_mul_i32 s38, s35, s39
	s_add_co_ci_u32 s39, s31, 0
	s_delay_alu instid0(SALU_CYCLE_1) | instskip(NEXT) | instid1(SALU_CYCLE_1)
	s_add_nc_u64 s[38:39], s[2:3], s[38:39]
	s_add_co_u32 s34, s34, s38
	s_cselect_b32 s0, -1, 0
	s_delay_alu instid0(SALU_CYCLE_1) | instskip(SKIP_1) | instid1(SALU_CYCLE_1)
	s_cmp_lg_u32 s0, 0
	s_add_co_ci_u32 s35, s35, s39
	s_mul_u64 s[36:37], s[36:37], s[34:35]
	s_delay_alu instid0(SALU_CYCLE_1)
	s_mul_hi_u32 s39, s34, s37
	s_mul_i32 s38, s34, s37
	s_mul_hi_u32 s2, s34, s36
	s_mul_i32 s23, s35, s36
	s_add_nc_u64 s[38:39], s[2:3], s[38:39]
	s_mul_hi_u32 s0, s35, s36
	s_mul_hi_u32 s31, s35, s37
	s_add_co_u32 s2, s38, s23
	s_add_co_ci_u32 s2, s39, s0
	s_mul_i32 s36, s35, s37
	s_add_co_ci_u32 s37, s31, 0
	s_delay_alu instid0(SALU_CYCLE_1) | instskip(NEXT) | instid1(SALU_CYCLE_1)
	s_add_nc_u64 s[36:37], s[2:3], s[36:37]
	s_add_co_u32 s0, s34, s36
	s_cselect_b32 s2, -1, 0
	v_mul_hi_u32 v16, v8, s0
	s_cmp_lg_u32 s2, 0
	s_add_co_ci_u32 s2, s35, s37
	s_and_b64 s[34:35], s[0:1], s[14:15]
	v_mul_u64_e32 v[10:11], s[2:3], v[8:9]
	v_mul_u64_e32 v[6:7], s[34:35], v[12:13]
	;; [unrolled: 1-line block ×3, first 2 shown]
	s_delay_alu instid0(VALU_DEP_3) | instskip(NEXT) | instid1(VALU_DEP_1)
	v_add_nc_u64_e32 v[10:11], v[16:17], v[10:11]
	v_add_co_u32 v3, vcc_lo, v10, v6
	s_delay_alu instid0(VALU_DEP_2) | instskip(NEXT) | instid1(VALU_DEP_4)
	v_add_co_ci_u32_e32 v16, vcc_lo, v11, v7, vcc_lo
	v_add_co_ci_u32_e32 v15, vcc_lo, 0, v15, vcc_lo
	s_delay_alu instid0(VALU_DEP_1) | instskip(NEXT) | instid1(VALU_DEP_1)
	v_add_nc_u64_e32 v[6:7], v[16:17], v[14:15]
	v_mul_u64_e32 v[10:11], s[24:25], v[6:7]
	s_delay_alu instid0(VALU_DEP_1) | instskip(NEXT) | instid1(VALU_DEP_2)
	v_sub_nc_u32_e32 v3, v12, v11
	v_sub_co_u32 v5, vcc_lo, v8, v10
	s_delay_alu instid0(VALU_DEP_1) | instskip(NEXT) | instid1(VALU_DEP_3)
	v_sub_co_ci_u32_e64 v12, null, v12, v11, vcc_lo
	v_subrev_co_ci_u32_e64 v3, null, s25, v3, vcc_lo
	s_delay_alu instid0(VALU_DEP_3) | instskip(SKIP_1) | instid1(VALU_DEP_3)
	v_sub_co_u32 v8, s0, v5, s24
	v_add_nc_u64_e32 v[10:11], 1, v[6:7]
	v_subrev_co_ci_u32_e64 v3, null, 0, v3, s0
	s_delay_alu instid0(VALU_DEP_3) | instskip(SKIP_1) | instid1(VALU_DEP_3)
	v_cmp_le_u32_e32 vcc_lo, s24, v8
	v_cndmask_b32_e64 v8, 0, -1, vcc_lo
	v_cmp_le_u32_e32 vcc_lo, s25, v3
	v_cndmask_b32_e64 v9, 0, -1, vcc_lo
	;; [unrolled: 2-line block ×4, first 2 shown]
	v_cmp_eq_u32_e32 vcc_lo, s25, v3
	v_cndmask_b32_e32 v3, v9, v8, vcc_lo
	v_cmp_eq_u32_e32 vcc_lo, s25, v12
	v_add_nc_u64_e32 v[8:9], 2, v[6:7]
	v_cndmask_b32_e32 v5, v13, v5, vcc_lo
	s_delay_alu instid0(VALU_DEP_4) | instskip(NEXT) | instid1(VALU_DEP_2)
	v_cmp_ne_u32_e32 vcc_lo, 0, v3
	v_cmp_ne_u32_e64 s0, 0, v5
	s_delay_alu instid0(VALU_DEP_4) | instskip(NEXT) | instid1(VALU_DEP_1)
	v_dual_cndmask_b32 v3, v11, v9, vcc_lo :: v_dual_cndmask_b32 v5, v10, v8, vcc_lo
	v_dual_cndmask_b32 v6, v6, v5, s0 :: v_dual_mov_b32 v5, v4
	s_delay_alu instid0(VALU_DEP_1) | instskip(NEXT) | instid1(VALU_DEP_1)
	v_dual_cndmask_b32 v3, v7, v3, s0 :: v_dual_bitop2_b32 v6, v6, v4 bitop3:0x14
	v_xor_b32_e32 v7, v3, v4
	s_delay_alu instid0(VALU_DEP_1)
	v_sub_nc_u64_e32 v[4:5], v[6:7], v[4:5]
.LBB15_7:                               ;   in Loop: Header=BB15_4 Depth=1
	s_and_not1_saveexec_b32 s0, s30
	s_cbranch_execz .LBB15_9
; %bb.8:                                ;   in Loop: Header=BB15_4 Depth=1
	v_mul_hi_u32 v3, v0, v19
	s_delay_alu instid0(VALU_DEP_1) | instskip(NEXT) | instid1(VALU_DEP_1)
	v_mul_lo_u32 v4, v3, s16
	v_dual_add_nc_u32 v5, 1, v3 :: v_dual_sub_nc_u32 v4, v0, v4
	s_delay_alu instid0(VALU_DEP_1) | instskip(SKIP_1) | instid1(VALU_DEP_2)
	v_subrev_nc_u32_e32 v6, s16, v4
	v_cmp_le_u32_e32 vcc_lo, s16, v4
	v_dual_cndmask_b32 v4, v4, v6 :: v_dual_cndmask_b32 v3, v3, v5
	s_delay_alu instid0(VALU_DEP_1) | instskip(NEXT) | instid1(VALU_DEP_2)
	v_cmp_le_u32_e32 vcc_lo, s16, v4
	v_add_nc_u32_e32 v5, 1, v3
	s_delay_alu instid0(VALU_DEP_1)
	v_dual_cndmask_b32 v4, v3, v5 :: v_dual_mov_b32 v5, v2
.LBB15_9:                               ;   in Loop: Header=BB15_4 Depth=1
	s_or_b32 exec_lo, exec_lo, s0
	s_delay_alu instid0(VALU_DEP_1)
	v_mul_u64_e32 v[4:5], s[18:19], v[4:5]
.LBB15_10:                              ;   in Loop: Header=BB15_4 Depth=1
	v_lshl_add_u64 v[6:7], v[0:1], 2, s[6:7]
	v_cmp_ne_u32_e64 s0, 1, v18
	s_and_not1_b32 vcc_lo, exec_lo, s26
	s_mov_b32 s2, -1
                                        ; implicit-def: $vgpr8_vgpr9
	global_load_b32 v3, v[6:7], off
	s_wait_xcnt 0x0
	v_add_nc_u64_e32 v[6:7], s[18:19], v[4:5]
	s_cbranch_vccnz .LBB15_20
; %bb.11:                               ;   in Loop: Header=BB15_4 Depth=1
	v_mov_b64_e32 v[8:9], v[4:5]
	s_and_b32 vcc_lo, exec_lo, s0
	s_cbranch_vccnz .LBB15_19
; %bb.12:                               ;   in Loop: Header=BB15_4 Depth=1
	v_mov_b64_e32 v[8:9], v[4:5]
	s_delay_alu instid0(VALU_DEP_3)
	v_mov_b64_e32 v[12:13], v[6:7]
	v_lshl_add_u64 v[10:11], v[4:5], 2, s[8:9]
	s_mov_b32 s0, 0
	s_branch .LBB15_14
.LBB15_13:                              ;   in Loop: Header=BB15_14 Depth=2
	global_load_b32 v20, v[16:17], off
	s_wait_xcnt 0x0
	v_add_nc_u64_e32 v[16:17], 1, v[14:15]
	s_wait_loadcnt 0x0
	v_cmp_nge_f32_e32 vcc_lo, v20, v3
	v_dual_cndmask_b32 v13, v15, v13 :: v_dual_cndmask_b32 v12, v14, v12
	s_delay_alu instid0(VALU_DEP_3) | instskip(NEXT) | instid1(VALU_DEP_1)
	v_dual_cndmask_b32 v9, v9, v17 :: v_dual_cndmask_b32 v8, v8, v16
	v_cmp_ge_i64_e32 vcc_lo, v[8:9], v[12:13]
	s_or_b32 s0, vcc_lo, s0
	s_delay_alu instid0(SALU_CYCLE_1)
	s_and_not1_b32 exec_lo, exec_lo, s0
	s_cbranch_execz .LBB15_18
.LBB15_14:                              ;   Parent Loop BB15_4 Depth=1
                                        ; =>  This Inner Loop Header: Depth=2
	s_delay_alu instid0(VALU_DEP_2) | instskip(SKIP_1) | instid1(VALU_DEP_1)
	v_sub_nc_u64_e32 v[14:15], v[12:13], v[8:9]
	s_and_not1_b32 vcc_lo, exec_lo, s1
	v_lshrrev_b64 v[14:15], 1, v[14:15]
	s_delay_alu instid0(VALU_DEP_1)
	v_add_nc_u64_e32 v[14:15], v[14:15], v[8:9]
	s_cbranch_vccnz .LBB15_16
; %bb.15:                               ;   in Loop: Header=BB15_14 Depth=2
	s_delay_alu instid0(VALU_DEP_1)
	v_lshl_add_u64 v[16:17], v[14:15], 3, s[10:11]
	global_load_b64 v[16:17], v[16:17], off
	s_wait_loadcnt 0x0
	s_wait_xcnt 0x0
	v_lshl_add_u64 v[16:17], v[16:17], 2, v[10:11]
	s_cbranch_execnz .LBB15_13
	s_branch .LBB15_17
.LBB15_16:                              ;   in Loop: Header=BB15_14 Depth=2
                                        ; implicit-def: $vgpr16_vgpr17
.LBB15_17:                              ;   in Loop: Header=BB15_14 Depth=2
	s_delay_alu instid0(VALU_DEP_1)
	v_lshl_add_u64 v[16:17], v[14:15], 2, s[8:9]
	s_branch .LBB15_13
.LBB15_18:                              ;   in Loop: Header=BB15_4 Depth=1
	s_or_b32 exec_lo, exec_lo, s0
.LBB15_19:                              ;   in Loop: Header=BB15_4 Depth=1
	s_mov_b32 s2, 0
.LBB15_20:                              ;   in Loop: Header=BB15_4 Depth=1
	s_delay_alu instid0(SALU_CYCLE_1)
	s_and_not1_b32 vcc_lo, exec_lo, s2
	s_cbranch_vccnz .LBB15_3
; %bb.21:                               ;   in Loop: Header=BB15_4 Depth=1
	v_mov_b64_e32 v[8:9], v[4:5]
	s_and_not1_b32 vcc_lo, exec_lo, s28
	s_cbranch_vccnz .LBB15_3
; %bb.22:                               ;   in Loop: Header=BB15_4 Depth=1
	v_mov_b64_e32 v[8:9], v[4:5]
	v_lshl_add_u64 v[10:11], v[4:5], 2, s[8:9]
	s_mov_b32 s0, 0
	s_branch .LBB15_24
.LBB15_23:                              ;   in Loop: Header=BB15_24 Depth=2
	global_load_b32 v5, v[14:15], off
	s_wait_xcnt 0x0
	v_add_nc_u64_e32 v[14:15], 1, v[12:13]
	s_wait_loadcnt 0x0
	v_cmp_gt_f32_e32 vcc_lo, v5, v3
	v_dual_cndmask_b32 v7, v7, v13 :: v_dual_cndmask_b32 v6, v6, v12
	s_delay_alu instid0(VALU_DEP_3) | instskip(NEXT) | instid1(VALU_DEP_1)
	v_dual_cndmask_b32 v9, v15, v9 :: v_dual_cndmask_b32 v8, v14, v8
	v_cmp_ge_i64_e32 vcc_lo, v[8:9], v[6:7]
	s_or_b32 s0, vcc_lo, s0
	s_delay_alu instid0(SALU_CYCLE_1)
	s_and_not1_b32 exec_lo, exec_lo, s0
	s_cbranch_execz .LBB15_2
.LBB15_24:                              ;   Parent Loop BB15_4 Depth=1
                                        ; =>  This Inner Loop Header: Depth=2
	s_delay_alu instid0(VALU_DEP_2) | instskip(SKIP_1) | instid1(VALU_DEP_1)
	v_sub_nc_u64_e32 v[12:13], v[6:7], v[8:9]
	s_and_not1_b32 vcc_lo, exec_lo, s1
	v_lshrrev_b64 v[12:13], 1, v[12:13]
	s_delay_alu instid0(VALU_DEP_1)
	v_add_nc_u64_e32 v[12:13], v[12:13], v[8:9]
	s_cbranch_vccnz .LBB15_26
; %bb.25:                               ;   in Loop: Header=BB15_24 Depth=2
	s_delay_alu instid0(VALU_DEP_1)
	v_lshl_add_u64 v[14:15], v[12:13], 3, s[10:11]
	global_load_b64 v[14:15], v[14:15], off
	s_wait_loadcnt 0x0
	s_wait_xcnt 0x0
	v_lshl_add_u64 v[14:15], v[14:15], 2, v[10:11]
	s_cbranch_execnz .LBB15_23
	s_branch .LBB15_27
.LBB15_26:                              ;   in Loop: Header=BB15_24 Depth=2
                                        ; implicit-def: $vgpr14_vgpr15
.LBB15_27:                              ;   in Loop: Header=BB15_24 Depth=2
	s_delay_alu instid0(VALU_DEP_1)
	v_lshl_add_u64 v[14:15], v[12:13], 2, s[8:9]
	s_branch .LBB15_23
.LBB15_28:
	s_endpgm
	.section	.rodata,"a",@progbits
	.p2align	6, 0x0
	.amdhsa_kernel _ZN2at6native12_GLOBAL__N_124searchsorted_cuda_kernelIfiEEvPT0_PKT_S7_PKllllbb
		.amdhsa_group_segment_fixed_size 0
		.amdhsa_private_segment_fixed_size 0
		.amdhsa_kernarg_size 320
		.amdhsa_user_sgpr_count 2
		.amdhsa_user_sgpr_dispatch_ptr 0
		.amdhsa_user_sgpr_queue_ptr 0
		.amdhsa_user_sgpr_kernarg_segment_ptr 1
		.amdhsa_user_sgpr_dispatch_id 0
		.amdhsa_user_sgpr_kernarg_preload_length 0
		.amdhsa_user_sgpr_kernarg_preload_offset 0
		.amdhsa_user_sgpr_private_segment_size 0
		.amdhsa_wavefront_size32 1
		.amdhsa_uses_dynamic_stack 0
		.amdhsa_enable_private_segment 0
		.amdhsa_system_sgpr_workgroup_id_x 1
		.amdhsa_system_sgpr_workgroup_id_y 0
		.amdhsa_system_sgpr_workgroup_id_z 0
		.amdhsa_system_sgpr_workgroup_info 0
		.amdhsa_system_vgpr_workitem_id 0
		.amdhsa_next_free_vgpr 21
		.amdhsa_next_free_sgpr 42
		.amdhsa_named_barrier_count 0
		.amdhsa_reserve_vcc 1
		.amdhsa_float_round_mode_32 0
		.amdhsa_float_round_mode_16_64 0
		.amdhsa_float_denorm_mode_32 3
		.amdhsa_float_denorm_mode_16_64 3
		.amdhsa_fp16_overflow 0
		.amdhsa_memory_ordered 1
		.amdhsa_forward_progress 1
		.amdhsa_inst_pref_size 12
		.amdhsa_round_robin_scheduling 0
		.amdhsa_exception_fp_ieee_invalid_op 0
		.amdhsa_exception_fp_denorm_src 0
		.amdhsa_exception_fp_ieee_div_zero 0
		.amdhsa_exception_fp_ieee_overflow 0
		.amdhsa_exception_fp_ieee_underflow 0
		.amdhsa_exception_fp_ieee_inexact 0
		.amdhsa_exception_int_div_zero 0
	.end_amdhsa_kernel
	.section	.text._ZN2at6native12_GLOBAL__N_124searchsorted_cuda_kernelIfiEEvPT0_PKT_S7_PKllllbb,"axG",@progbits,_ZN2at6native12_GLOBAL__N_124searchsorted_cuda_kernelIfiEEvPT0_PKT_S7_PKllllbb,comdat
.Lfunc_end15:
	.size	_ZN2at6native12_GLOBAL__N_124searchsorted_cuda_kernelIfiEEvPT0_PKT_S7_PKllllbb, .Lfunc_end15-_ZN2at6native12_GLOBAL__N_124searchsorted_cuda_kernelIfiEEvPT0_PKT_S7_PKllllbb
                                        ; -- End function
	.set _ZN2at6native12_GLOBAL__N_124searchsorted_cuda_kernelIfiEEvPT0_PKT_S7_PKllllbb.num_vgpr, 21
	.set _ZN2at6native12_GLOBAL__N_124searchsorted_cuda_kernelIfiEEvPT0_PKT_S7_PKllllbb.num_agpr, 0
	.set _ZN2at6native12_GLOBAL__N_124searchsorted_cuda_kernelIfiEEvPT0_PKT_S7_PKllllbb.numbered_sgpr, 42
	.set _ZN2at6native12_GLOBAL__N_124searchsorted_cuda_kernelIfiEEvPT0_PKT_S7_PKllllbb.num_named_barrier, 0
	.set _ZN2at6native12_GLOBAL__N_124searchsorted_cuda_kernelIfiEEvPT0_PKT_S7_PKllllbb.private_seg_size, 0
	.set _ZN2at6native12_GLOBAL__N_124searchsorted_cuda_kernelIfiEEvPT0_PKT_S7_PKllllbb.uses_vcc, 1
	.set _ZN2at6native12_GLOBAL__N_124searchsorted_cuda_kernelIfiEEvPT0_PKT_S7_PKllllbb.uses_flat_scratch, 0
	.set _ZN2at6native12_GLOBAL__N_124searchsorted_cuda_kernelIfiEEvPT0_PKT_S7_PKllllbb.has_dyn_sized_stack, 0
	.set _ZN2at6native12_GLOBAL__N_124searchsorted_cuda_kernelIfiEEvPT0_PKT_S7_PKllllbb.has_recursion, 0
	.set _ZN2at6native12_GLOBAL__N_124searchsorted_cuda_kernelIfiEEvPT0_PKT_S7_PKllllbb.has_indirect_call, 0
	.section	.AMDGPU.csdata,"",@progbits
; Kernel info:
; codeLenInByte = 1516
; TotalNumSgprs: 44
; NumVgprs: 21
; ScratchSize: 0
; MemoryBound: 0
; FloatMode: 240
; IeeeMode: 1
; LDSByteSize: 0 bytes/workgroup (compile time only)
; SGPRBlocks: 0
; VGPRBlocks: 1
; NumSGPRsForWavesPerEU: 44
; NumVGPRsForWavesPerEU: 21
; NamedBarCnt: 0
; Occupancy: 16
; WaveLimiterHint : 0
; COMPUTE_PGM_RSRC2:SCRATCH_EN: 0
; COMPUTE_PGM_RSRC2:USER_SGPR: 2
; COMPUTE_PGM_RSRC2:TRAP_HANDLER: 0
; COMPUTE_PGM_RSRC2:TGID_X_EN: 1
; COMPUTE_PGM_RSRC2:TGID_Y_EN: 0
; COMPUTE_PGM_RSRC2:TGID_Z_EN: 0
; COMPUTE_PGM_RSRC2:TIDIG_COMP_CNT: 0
	.section	.text._ZN2at6native12_GLOBAL__N_124searchsorted_cuda_kernelIN3c104HalfEiEEvPT0_PKT_S9_PKllllbb,"axG",@progbits,_ZN2at6native12_GLOBAL__N_124searchsorted_cuda_kernelIN3c104HalfEiEEvPT0_PKT_S9_PKllllbb,comdat
	.globl	_ZN2at6native12_GLOBAL__N_124searchsorted_cuda_kernelIN3c104HalfEiEEvPT0_PKT_S9_PKllllbb ; -- Begin function _ZN2at6native12_GLOBAL__N_124searchsorted_cuda_kernelIN3c104HalfEiEEvPT0_PKT_S9_PKllllbb
	.p2align	8
	.type	_ZN2at6native12_GLOBAL__N_124searchsorted_cuda_kernelIN3c104HalfEiEEvPT0_PKT_S9_PKllllbb,@function
_ZN2at6native12_GLOBAL__N_124searchsorted_cuda_kernelIN3c104HalfEiEEvPT0_PKT_S9_PKllllbb: ; @_ZN2at6native12_GLOBAL__N_124searchsorted_cuda_kernelIN3c104HalfEiEEvPT0_PKT_S9_PKllllbb
; %bb.0:
	s_clause 0x1
	s_load_b32 s2, s[0:1], 0x4c
	s_load_b128 s[12:15], s[0:1], 0x30
	s_bfe_u32 s3, ttmp6, 0x4000c
	v_mov_b32_e32 v2, 0
	s_add_co_i32 s3, s3, 1
	s_and_b32 s4, ttmp6, 15
	s_mul_i32 s3, ttmp9, s3
	s_getreg_b32 s5, hwreg(HW_REG_IB_STS2, 6, 4)
	v_mov_b32_e32 v1, v2
	s_add_co_i32 s4, s4, s3
	s_wait_kmcnt 0x0
	s_and_b32 s2, s2, 0xffff
	s_cmp_eq_u32 s5, 0
	s_cselect_b32 s3, ttmp9, s4
	s_mov_b32 s4, exec_lo
	v_mad_nc_u64_u32 v[0:1], s2, s3, v[0:1]
	s_mov_b32 s3, 0
	s_delay_alu instid0(VALU_DEP_1)
	v_cmpx_gt_i64_e64 s[12:13], v[0:1]
	s_cbranch_execz .LBB16_28
; %bb.1:
	s_clause 0x2
	s_load_b128 s[16:19], s[0:1], 0x20
	s_load_b32 s14, s[0:1], 0x38
	s_load_b256 s[4:11], s[0:1], 0x0
	s_mov_b32 s21, s3
	s_mov_b32 s29, 0
	s_wait_kmcnt 0x0
	v_cvt_f32_u32_e32 v3, s16
	s_bitcmp1_b32 s14, 0
	v_cmp_gt_i64_e64 s28, s[18:19], 0
	s_cselect_b32 s15, -1, 0
	v_rcp_iflag_f32_e32 v3, v3
	s_xor_b32 s26, s15, -1
	s_bitcmp1_b32 s14, 8
	s_cselect_b32 s14, -1, 0
	v_cndmask_b32_e64 v18, 0, 1, s28
	s_xor_b32 s27, s14, -1
	s_delay_alu instid0(TRANS32_DEP_1)
	v_mul_f32_e32 v3, 0x4f7ffffe, v3
	s_cmp_lg_u64 s[10:11], 0
	s_add_nc_u64 s[14:15], s[0:1], 64
	s_cselect_b32 s1, -1, 0
	s_sub_co_i32 s0, 0, s16
	v_cvt_u32_f32_e32 v3, v3
	s_load_b32 s20, s[14:15], 0x0
	s_wait_xcnt 0x0
	s_mov_b64 s[14:15], 0xffffffff
	s_ashr_i32 s22, s17, 31
	v_mul_lo_u32 v4, s0, v3
	s_delay_alu instid0(VALU_DEP_1) | instskip(SKIP_2) | instid1(VALU_DEP_1)
	v_mul_hi_u32 v4, v3, v4
	s_wait_kmcnt 0x0
	s_mul_i32 s20, s20, s2
	v_add_nc_u32_e32 v19, v3, v4
	s_branch .LBB16_4
.LBB16_2:                               ;   in Loop: Header=BB16_4 Depth=1
	s_or_b32 exec_lo, exec_lo, s0
.LBB16_3:                               ;   in Loop: Header=BB16_4 Depth=1
	v_lshl_add_u64 v[6:7], v[0:1], 2, s[4:5]
	v_add_nc_u64_e32 v[0:1], s[20:21], v[0:1]
	s_delay_alu instid0(VALU_DEP_3)
	v_sub_nc_u32_e32 v3, v8, v4
	global_store_b32 v[6:7], v3, off
	v_cmp_le_i64_e32 vcc_lo, s[12:13], v[0:1]
	s_or_b32 s29, vcc_lo, s29
	s_wait_xcnt 0x0
	s_and_not1_b32 exec_lo, exec_lo, s29
	s_cbranch_execz .LBB16_28
.LBB16_4:                               ; =>This Loop Header: Depth=1
                                        ;     Child Loop BB16_14 Depth 2
                                        ;     Child Loop BB16_24 Depth 2
	v_mov_b64_e32 v[4:5], 0
	s_and_not1_b32 vcc_lo, exec_lo, s27
	s_cbranch_vccnz .LBB16_10
; %bb.5:                                ;   in Loop: Header=BB16_4 Depth=1
	v_or_b32_e32 v3, s17, v1
                                        ; implicit-def: $vgpr4_vgpr5
	s_mov_b32 s0, exec_lo
	s_delay_alu instid0(VALU_DEP_1)
	v_cmpx_ne_u64_e32 0, v[2:3]
	s_xor_b32 s30, exec_lo, s0
	s_cbranch_execz .LBB16_7
; %bb.6:                                ;   in Loop: Header=BB16_4 Depth=1
	s_mov_b32 s23, s22
	v_dual_mov_b32 v9, v2 :: v_dual_ashrrev_i32 v4, 31, v1
	s_add_nc_u64 s[24:25], s[16:17], s[22:23]
	s_delay_alu instid0(SALU_CYCLE_1) | instskip(NEXT) | instid1(VALU_DEP_1)
	s_xor_b64 s[24:25], s[24:25], s[22:23]
	v_mov_b32_e32 v5, v4
	s_cvt_f32_u32 s0, s24
	s_cvt_f32_u32 s2, s25
	s_sub_nc_u64 s[36:37], 0, s[24:25]
	s_delay_alu instid0(VALU_DEP_1) | instskip(NEXT) | instid1(SALU_CYCLE_1)
	v_add_nc_u64_e32 v[6:7], v[0:1], v[4:5]
	s_fmamk_f32 s0, s2, 0x4f800000, s0
	v_mov_b32_e32 v13, v2
	s_delay_alu instid0(SALU_CYCLE_2) | instskip(NEXT) | instid1(VALU_DEP_2)
	v_s_rcp_f32 s0, s0
	v_xor_b32_e32 v8, v6, v4
	s_delay_alu instid0(VALU_DEP_3) | instskip(SKIP_1) | instid1(TRANS32_DEP_1)
	v_dual_mov_b32 v17, v2 :: v_dual_bitop2_b32 v12, v7, v4 bitop3:0x14
	v_xor_b32_e32 v4, s22, v4
	s_mul_f32 s0, s0, 0x5f7ffffc
	s_delay_alu instid0(SALU_CYCLE_3) | instskip(NEXT) | instid1(SALU_CYCLE_3)
	s_mul_f32 s2, s0, 0x2f800000
	s_trunc_f32 s2, s2
	s_delay_alu instid0(SALU_CYCLE_3) | instskip(SKIP_1) | instid1(SALU_CYCLE_2)
	s_fmamk_f32 s0, s2, 0xcf800000, s0
	s_cvt_u32_f32 s35, s2
	s_cvt_u32_f32 s34, s0
	s_delay_alu instid0(SALU_CYCLE_3) | instskip(NEXT) | instid1(SALU_CYCLE_1)
	s_mul_u64 s[38:39], s[36:37], s[34:35]
	s_mul_hi_u32 s41, s34, s39
	s_mul_i32 s40, s34, s39
	s_mul_hi_u32 s2, s34, s38
	s_mul_i32 s23, s35, s38
	s_add_nc_u64 s[40:41], s[2:3], s[40:41]
	s_mul_hi_u32 s0, s35, s38
	s_mul_hi_u32 s31, s35, s39
	s_add_co_u32 s2, s40, s23
	s_add_co_ci_u32 s2, s41, s0
	s_mul_i32 s38, s35, s39
	s_add_co_ci_u32 s39, s31, 0
	s_delay_alu instid0(SALU_CYCLE_1) | instskip(NEXT) | instid1(SALU_CYCLE_1)
	s_add_nc_u64 s[38:39], s[2:3], s[38:39]
	s_add_co_u32 s34, s34, s38
	s_cselect_b32 s0, -1, 0
	s_delay_alu instid0(SALU_CYCLE_1) | instskip(SKIP_1) | instid1(SALU_CYCLE_1)
	s_cmp_lg_u32 s0, 0
	s_add_co_ci_u32 s35, s35, s39
	s_mul_u64 s[36:37], s[36:37], s[34:35]
	s_delay_alu instid0(SALU_CYCLE_1)
	s_mul_hi_u32 s39, s34, s37
	s_mul_i32 s38, s34, s37
	s_mul_hi_u32 s2, s34, s36
	s_mul_i32 s23, s35, s36
	s_add_nc_u64 s[38:39], s[2:3], s[38:39]
	s_mul_hi_u32 s0, s35, s36
	s_mul_hi_u32 s31, s35, s37
	s_add_co_u32 s2, s38, s23
	s_add_co_ci_u32 s2, s39, s0
	s_mul_i32 s36, s35, s37
	s_add_co_ci_u32 s37, s31, 0
	s_delay_alu instid0(SALU_CYCLE_1) | instskip(NEXT) | instid1(SALU_CYCLE_1)
	s_add_nc_u64 s[36:37], s[2:3], s[36:37]
	s_add_co_u32 s0, s34, s36
	s_cselect_b32 s2, -1, 0
	v_mul_hi_u32 v16, v8, s0
	s_cmp_lg_u32 s2, 0
	s_add_co_ci_u32 s2, s35, s37
	s_and_b64 s[34:35], s[0:1], s[14:15]
	v_mul_u64_e32 v[10:11], s[2:3], v[8:9]
	v_mul_u64_e32 v[6:7], s[34:35], v[12:13]
	;; [unrolled: 1-line block ×3, first 2 shown]
	s_delay_alu instid0(VALU_DEP_3) | instskip(NEXT) | instid1(VALU_DEP_1)
	v_add_nc_u64_e32 v[10:11], v[16:17], v[10:11]
	v_add_co_u32 v3, vcc_lo, v10, v6
	s_delay_alu instid0(VALU_DEP_2) | instskip(NEXT) | instid1(VALU_DEP_4)
	v_add_co_ci_u32_e32 v16, vcc_lo, v11, v7, vcc_lo
	v_add_co_ci_u32_e32 v15, vcc_lo, 0, v15, vcc_lo
	s_delay_alu instid0(VALU_DEP_1) | instskip(NEXT) | instid1(VALU_DEP_1)
	v_add_nc_u64_e32 v[6:7], v[16:17], v[14:15]
	v_mul_u64_e32 v[10:11], s[24:25], v[6:7]
	s_delay_alu instid0(VALU_DEP_1) | instskip(NEXT) | instid1(VALU_DEP_2)
	v_sub_nc_u32_e32 v3, v12, v11
	v_sub_co_u32 v5, vcc_lo, v8, v10
	s_delay_alu instid0(VALU_DEP_1) | instskip(NEXT) | instid1(VALU_DEP_3)
	v_sub_co_ci_u32_e64 v12, null, v12, v11, vcc_lo
	v_subrev_co_ci_u32_e64 v3, null, s25, v3, vcc_lo
	s_delay_alu instid0(VALU_DEP_3) | instskip(SKIP_1) | instid1(VALU_DEP_3)
	v_sub_co_u32 v8, s0, v5, s24
	v_add_nc_u64_e32 v[10:11], 1, v[6:7]
	v_subrev_co_ci_u32_e64 v3, null, 0, v3, s0
	s_delay_alu instid0(VALU_DEP_3) | instskip(SKIP_1) | instid1(VALU_DEP_3)
	v_cmp_le_u32_e32 vcc_lo, s24, v8
	v_cndmask_b32_e64 v8, 0, -1, vcc_lo
	v_cmp_le_u32_e32 vcc_lo, s25, v3
	v_cndmask_b32_e64 v9, 0, -1, vcc_lo
	;; [unrolled: 2-line block ×4, first 2 shown]
	v_cmp_eq_u32_e32 vcc_lo, s25, v3
	v_cndmask_b32_e32 v3, v9, v8, vcc_lo
	v_cmp_eq_u32_e32 vcc_lo, s25, v12
	v_add_nc_u64_e32 v[8:9], 2, v[6:7]
	v_cndmask_b32_e32 v5, v13, v5, vcc_lo
	s_delay_alu instid0(VALU_DEP_4) | instskip(NEXT) | instid1(VALU_DEP_2)
	v_cmp_ne_u32_e32 vcc_lo, 0, v3
	v_cmp_ne_u32_e64 s0, 0, v5
	s_delay_alu instid0(VALU_DEP_4) | instskip(NEXT) | instid1(VALU_DEP_1)
	v_dual_cndmask_b32 v3, v11, v9, vcc_lo :: v_dual_cndmask_b32 v5, v10, v8, vcc_lo
	v_dual_cndmask_b32 v6, v6, v5, s0 :: v_dual_mov_b32 v5, v4
	s_delay_alu instid0(VALU_DEP_1) | instskip(NEXT) | instid1(VALU_DEP_1)
	v_dual_cndmask_b32 v3, v7, v3, s0 :: v_dual_bitop2_b32 v6, v6, v4 bitop3:0x14
	v_xor_b32_e32 v7, v3, v4
	s_delay_alu instid0(VALU_DEP_1)
	v_sub_nc_u64_e32 v[4:5], v[6:7], v[4:5]
.LBB16_7:                               ;   in Loop: Header=BB16_4 Depth=1
	s_and_not1_saveexec_b32 s0, s30
	s_cbranch_execz .LBB16_9
; %bb.8:                                ;   in Loop: Header=BB16_4 Depth=1
	v_mul_hi_u32 v3, v0, v19
	s_delay_alu instid0(VALU_DEP_1) | instskip(NEXT) | instid1(VALU_DEP_1)
	v_mul_lo_u32 v4, v3, s16
	v_dual_add_nc_u32 v5, 1, v3 :: v_dual_sub_nc_u32 v4, v0, v4
	s_delay_alu instid0(VALU_DEP_1) | instskip(SKIP_1) | instid1(VALU_DEP_2)
	v_subrev_nc_u32_e32 v6, s16, v4
	v_cmp_le_u32_e32 vcc_lo, s16, v4
	v_dual_cndmask_b32 v4, v4, v6 :: v_dual_cndmask_b32 v3, v3, v5
	s_delay_alu instid0(VALU_DEP_1) | instskip(NEXT) | instid1(VALU_DEP_2)
	v_cmp_le_u32_e32 vcc_lo, s16, v4
	v_add_nc_u32_e32 v5, 1, v3
	s_delay_alu instid0(VALU_DEP_1)
	v_dual_cndmask_b32 v4, v3, v5 :: v_dual_mov_b32 v5, v2
.LBB16_9:                               ;   in Loop: Header=BB16_4 Depth=1
	s_or_b32 exec_lo, exec_lo, s0
	s_delay_alu instid0(VALU_DEP_1)
	v_mul_u64_e32 v[4:5], s[18:19], v[4:5]
.LBB16_10:                              ;   in Loop: Header=BB16_4 Depth=1
	s_delay_alu instid0(VALU_DEP_1)
	v_add_nc_u64_e32 v[6:7], s[18:19], v[4:5]
	v_cmp_ne_u32_e64 s0, 1, v18
	s_and_not1_b32 vcc_lo, exec_lo, s26
	s_mov_b32 s2, -1
                                        ; implicit-def: $vgpr8_vgpr9
	s_cbranch_vccnz .LBB16_20
; %bb.11:                               ;   in Loop: Header=BB16_4 Depth=1
	v_mov_b64_e32 v[8:9], v[4:5]
	s_and_b32 vcc_lo, exec_lo, s0
	s_cbranch_vccnz .LBB16_19
; %bb.12:                               ;   in Loop: Header=BB16_4 Depth=1
	v_lshl_add_u64 v[8:9], v[0:1], 1, s[6:7]
	v_mov_b64_e32 v[12:13], v[6:7]
	v_lshl_add_u64 v[10:11], v[4:5], 1, s[8:9]
	s_mov_b32 s0, 0
	global_load_u16 v3, v[8:9], off
	s_wait_xcnt 0x0
	v_mov_b64_e32 v[8:9], v[4:5]
	s_branch .LBB16_14
.LBB16_13:                              ;   in Loop: Header=BB16_14 Depth=2
	global_load_u16 v20, v[16:17], off
	s_wait_xcnt 0x0
	v_add_nc_u64_e32 v[16:17], 1, v[14:15]
	s_wait_loadcnt 0x0
	v_cmp_nge_f16_e32 vcc_lo, v20, v3
	v_dual_cndmask_b32 v13, v15, v13 :: v_dual_cndmask_b32 v12, v14, v12
	s_delay_alu instid0(VALU_DEP_3) | instskip(NEXT) | instid1(VALU_DEP_1)
	v_dual_cndmask_b32 v9, v9, v17 :: v_dual_cndmask_b32 v8, v8, v16
	v_cmp_ge_i64_e32 vcc_lo, v[8:9], v[12:13]
	s_or_b32 s0, vcc_lo, s0
	s_delay_alu instid0(SALU_CYCLE_1)
	s_and_not1_b32 exec_lo, exec_lo, s0
	s_cbranch_execz .LBB16_18
.LBB16_14:                              ;   Parent Loop BB16_4 Depth=1
                                        ; =>  This Inner Loop Header: Depth=2
	s_delay_alu instid0(VALU_DEP_1) | instskip(SKIP_1) | instid1(VALU_DEP_1)
	v_sub_nc_u64_e32 v[14:15], v[12:13], v[8:9]
	s_and_not1_b32 vcc_lo, exec_lo, s1
	v_lshrrev_b64 v[14:15], 1, v[14:15]
	s_delay_alu instid0(VALU_DEP_1)
	v_add_nc_u64_e32 v[14:15], v[14:15], v[8:9]
	s_cbranch_vccnz .LBB16_16
; %bb.15:                               ;   in Loop: Header=BB16_14 Depth=2
	s_delay_alu instid0(VALU_DEP_1)
	v_lshl_add_u64 v[16:17], v[14:15], 3, s[10:11]
	global_load_b64 v[16:17], v[16:17], off
	s_wait_loadcnt 0x0
	s_wait_xcnt 0x0
	v_lshl_add_u64 v[16:17], v[16:17], 1, v[10:11]
	s_cbranch_execnz .LBB16_13
	s_branch .LBB16_17
.LBB16_16:                              ;   in Loop: Header=BB16_14 Depth=2
                                        ; implicit-def: $vgpr16_vgpr17
.LBB16_17:                              ;   in Loop: Header=BB16_14 Depth=2
	s_delay_alu instid0(VALU_DEP_1)
	v_lshl_add_u64 v[16:17], v[14:15], 1, s[8:9]
	s_branch .LBB16_13
.LBB16_18:                              ;   in Loop: Header=BB16_4 Depth=1
	s_or_b32 exec_lo, exec_lo, s0
.LBB16_19:                              ;   in Loop: Header=BB16_4 Depth=1
	s_mov_b32 s2, 0
.LBB16_20:                              ;   in Loop: Header=BB16_4 Depth=1
	s_delay_alu instid0(SALU_CYCLE_1)
	s_and_not1_b32 vcc_lo, exec_lo, s2
	s_cbranch_vccnz .LBB16_3
; %bb.21:                               ;   in Loop: Header=BB16_4 Depth=1
	v_mov_b64_e32 v[8:9], v[4:5]
	s_and_not1_b32 vcc_lo, exec_lo, s28
	s_cbranch_vccnz .LBB16_3
; %bb.22:                               ;   in Loop: Header=BB16_4 Depth=1
	v_lshl_add_u64 v[8:9], v[0:1], 1, s[6:7]
	v_lshl_add_u64 v[10:11], v[4:5], 1, s[8:9]
	s_mov_b32 s0, 0
	global_load_u16 v3, v[8:9], off
	s_wait_xcnt 0x0
	v_mov_b64_e32 v[8:9], v[4:5]
	s_branch .LBB16_24
.LBB16_23:                              ;   in Loop: Header=BB16_24 Depth=2
	global_load_u16 v5, v[14:15], off
	s_wait_xcnt 0x0
	v_add_nc_u64_e32 v[14:15], 1, v[12:13]
	s_wait_loadcnt 0x0
	v_cmp_gt_f16_e32 vcc_lo, v5, v3
	v_dual_cndmask_b32 v7, v7, v13 :: v_dual_cndmask_b32 v6, v6, v12
	s_delay_alu instid0(VALU_DEP_3) | instskip(NEXT) | instid1(VALU_DEP_1)
	v_dual_cndmask_b32 v9, v15, v9 :: v_dual_cndmask_b32 v8, v14, v8
	v_cmp_ge_i64_e32 vcc_lo, v[8:9], v[6:7]
	s_or_b32 s0, vcc_lo, s0
	s_delay_alu instid0(SALU_CYCLE_1)
	s_and_not1_b32 exec_lo, exec_lo, s0
	s_cbranch_execz .LBB16_2
.LBB16_24:                              ;   Parent Loop BB16_4 Depth=1
                                        ; =>  This Inner Loop Header: Depth=2
	s_delay_alu instid0(VALU_DEP_1) | instskip(SKIP_1) | instid1(VALU_DEP_1)
	v_sub_nc_u64_e32 v[12:13], v[6:7], v[8:9]
	s_and_not1_b32 vcc_lo, exec_lo, s1
	v_lshrrev_b64 v[12:13], 1, v[12:13]
	s_delay_alu instid0(VALU_DEP_1)
	v_add_nc_u64_e32 v[12:13], v[12:13], v[8:9]
	s_cbranch_vccnz .LBB16_26
; %bb.25:                               ;   in Loop: Header=BB16_24 Depth=2
	s_delay_alu instid0(VALU_DEP_1)
	v_lshl_add_u64 v[14:15], v[12:13], 3, s[10:11]
	global_load_b64 v[14:15], v[14:15], off
	s_wait_loadcnt 0x0
	s_wait_xcnt 0x0
	v_lshl_add_u64 v[14:15], v[14:15], 1, v[10:11]
	s_cbranch_execnz .LBB16_23
	s_branch .LBB16_27
.LBB16_26:                              ;   in Loop: Header=BB16_24 Depth=2
                                        ; implicit-def: $vgpr14_vgpr15
.LBB16_27:                              ;   in Loop: Header=BB16_24 Depth=2
	s_delay_alu instid0(VALU_DEP_1)
	v_lshl_add_u64 v[14:15], v[12:13], 1, s[8:9]
	s_branch .LBB16_23
.LBB16_28:
	s_endpgm
	.section	.rodata,"a",@progbits
	.p2align	6, 0x0
	.amdhsa_kernel _ZN2at6native12_GLOBAL__N_124searchsorted_cuda_kernelIN3c104HalfEiEEvPT0_PKT_S9_PKllllbb
		.amdhsa_group_segment_fixed_size 0
		.amdhsa_private_segment_fixed_size 0
		.amdhsa_kernarg_size 320
		.amdhsa_user_sgpr_count 2
		.amdhsa_user_sgpr_dispatch_ptr 0
		.amdhsa_user_sgpr_queue_ptr 0
		.amdhsa_user_sgpr_kernarg_segment_ptr 1
		.amdhsa_user_sgpr_dispatch_id 0
		.amdhsa_user_sgpr_kernarg_preload_length 0
		.amdhsa_user_sgpr_kernarg_preload_offset 0
		.amdhsa_user_sgpr_private_segment_size 0
		.amdhsa_wavefront_size32 1
		.amdhsa_uses_dynamic_stack 0
		.amdhsa_enable_private_segment 0
		.amdhsa_system_sgpr_workgroup_id_x 1
		.amdhsa_system_sgpr_workgroup_id_y 0
		.amdhsa_system_sgpr_workgroup_id_z 0
		.amdhsa_system_sgpr_workgroup_info 0
		.amdhsa_system_vgpr_workitem_id 0
		.amdhsa_next_free_vgpr 21
		.amdhsa_next_free_sgpr 42
		.amdhsa_named_barrier_count 0
		.amdhsa_reserve_vcc 1
		.amdhsa_float_round_mode_32 0
		.amdhsa_float_round_mode_16_64 0
		.amdhsa_float_denorm_mode_32 3
		.amdhsa_float_denorm_mode_16_64 3
		.amdhsa_fp16_overflow 0
		.amdhsa_memory_ordered 1
		.amdhsa_forward_progress 1
		.amdhsa_inst_pref_size 12
		.amdhsa_round_robin_scheduling 0
		.amdhsa_exception_fp_ieee_invalid_op 0
		.amdhsa_exception_fp_denorm_src 0
		.amdhsa_exception_fp_ieee_div_zero 0
		.amdhsa_exception_fp_ieee_overflow 0
		.amdhsa_exception_fp_ieee_underflow 0
		.amdhsa_exception_fp_ieee_inexact 0
		.amdhsa_exception_int_div_zero 0
	.end_amdhsa_kernel
	.section	.text._ZN2at6native12_GLOBAL__N_124searchsorted_cuda_kernelIN3c104HalfEiEEvPT0_PKT_S9_PKllllbb,"axG",@progbits,_ZN2at6native12_GLOBAL__N_124searchsorted_cuda_kernelIN3c104HalfEiEEvPT0_PKT_S9_PKllllbb,comdat
.Lfunc_end16:
	.size	_ZN2at6native12_GLOBAL__N_124searchsorted_cuda_kernelIN3c104HalfEiEEvPT0_PKT_S9_PKllllbb, .Lfunc_end16-_ZN2at6native12_GLOBAL__N_124searchsorted_cuda_kernelIN3c104HalfEiEEvPT0_PKT_S9_PKllllbb
                                        ; -- End function
	.set _ZN2at6native12_GLOBAL__N_124searchsorted_cuda_kernelIN3c104HalfEiEEvPT0_PKT_S9_PKllllbb.num_vgpr, 21
	.set _ZN2at6native12_GLOBAL__N_124searchsorted_cuda_kernelIN3c104HalfEiEEvPT0_PKT_S9_PKllllbb.num_agpr, 0
	.set _ZN2at6native12_GLOBAL__N_124searchsorted_cuda_kernelIN3c104HalfEiEEvPT0_PKT_S9_PKllllbb.numbered_sgpr, 42
	.set _ZN2at6native12_GLOBAL__N_124searchsorted_cuda_kernelIN3c104HalfEiEEvPT0_PKT_S9_PKllllbb.num_named_barrier, 0
	.set _ZN2at6native12_GLOBAL__N_124searchsorted_cuda_kernelIN3c104HalfEiEEvPT0_PKT_S9_PKllllbb.private_seg_size, 0
	.set _ZN2at6native12_GLOBAL__N_124searchsorted_cuda_kernelIN3c104HalfEiEEvPT0_PKT_S9_PKllllbb.uses_vcc, 1
	.set _ZN2at6native12_GLOBAL__N_124searchsorted_cuda_kernelIN3c104HalfEiEEvPT0_PKT_S9_PKllllbb.uses_flat_scratch, 0
	.set _ZN2at6native12_GLOBAL__N_124searchsorted_cuda_kernelIN3c104HalfEiEEvPT0_PKT_S9_PKllllbb.has_dyn_sized_stack, 0
	.set _ZN2at6native12_GLOBAL__N_124searchsorted_cuda_kernelIN3c104HalfEiEEvPT0_PKT_S9_PKllllbb.has_recursion, 0
	.set _ZN2at6native12_GLOBAL__N_124searchsorted_cuda_kernelIN3c104HalfEiEEvPT0_PKT_S9_PKllllbb.has_indirect_call, 0
	.section	.AMDGPU.csdata,"",@progbits
; Kernel info:
; codeLenInByte = 1536
; TotalNumSgprs: 44
; NumVgprs: 21
; ScratchSize: 0
; MemoryBound: 0
; FloatMode: 240
; IeeeMode: 1
; LDSByteSize: 0 bytes/workgroup (compile time only)
; SGPRBlocks: 0
; VGPRBlocks: 1
; NumSGPRsForWavesPerEU: 44
; NumVGPRsForWavesPerEU: 21
; NamedBarCnt: 0
; Occupancy: 16
; WaveLimiterHint : 0
; COMPUTE_PGM_RSRC2:SCRATCH_EN: 0
; COMPUTE_PGM_RSRC2:USER_SGPR: 2
; COMPUTE_PGM_RSRC2:TRAP_HANDLER: 0
; COMPUTE_PGM_RSRC2:TGID_X_EN: 1
; COMPUTE_PGM_RSRC2:TGID_Y_EN: 0
; COMPUTE_PGM_RSRC2:TGID_Z_EN: 0
; COMPUTE_PGM_RSRC2:TIDIG_COMP_CNT: 0
	.section	.text._ZN2at6native12_GLOBAL__N_124searchsorted_cuda_kernelIN3c108BFloat16EiEEvPT0_PKT_S9_PKllllbb,"axG",@progbits,_ZN2at6native12_GLOBAL__N_124searchsorted_cuda_kernelIN3c108BFloat16EiEEvPT0_PKT_S9_PKllllbb,comdat
	.globl	_ZN2at6native12_GLOBAL__N_124searchsorted_cuda_kernelIN3c108BFloat16EiEEvPT0_PKT_S9_PKllllbb ; -- Begin function _ZN2at6native12_GLOBAL__N_124searchsorted_cuda_kernelIN3c108BFloat16EiEEvPT0_PKT_S9_PKllllbb
	.p2align	8
	.type	_ZN2at6native12_GLOBAL__N_124searchsorted_cuda_kernelIN3c108BFloat16EiEEvPT0_PKT_S9_PKllllbb,@function
_ZN2at6native12_GLOBAL__N_124searchsorted_cuda_kernelIN3c108BFloat16EiEEvPT0_PKT_S9_PKllllbb: ; @_ZN2at6native12_GLOBAL__N_124searchsorted_cuda_kernelIN3c108BFloat16EiEEvPT0_PKT_S9_PKllllbb
; %bb.0:
	s_clause 0x1
	s_load_b32 s2, s[0:1], 0x4c
	s_load_b128 s[12:15], s[0:1], 0x30
	s_bfe_u32 s3, ttmp6, 0x4000c
	v_mov_b32_e32 v2, 0
	s_add_co_i32 s3, s3, 1
	s_and_b32 s4, ttmp6, 15
	s_mul_i32 s3, ttmp9, s3
	s_getreg_b32 s5, hwreg(HW_REG_IB_STS2, 6, 4)
	v_mov_b32_e32 v1, v2
	s_add_co_i32 s4, s4, s3
	s_wait_kmcnt 0x0
	s_and_b32 s2, s2, 0xffff
	s_cmp_eq_u32 s5, 0
	s_cselect_b32 s3, ttmp9, s4
	s_mov_b32 s4, exec_lo
	v_mad_nc_u64_u32 v[0:1], s2, s3, v[0:1]
	s_mov_b32 s3, 0
	s_delay_alu instid0(VALU_DEP_1)
	v_cmpx_gt_i64_e64 s[12:13], v[0:1]
	s_cbranch_execz .LBB17_28
; %bb.1:
	s_clause 0x2
	s_load_b128 s[16:19], s[0:1], 0x20
	s_load_b32 s14, s[0:1], 0x38
	s_load_b256 s[4:11], s[0:1], 0x0
	s_mov_b32 s21, s3
	s_mov_b32 s29, 0
	s_wait_kmcnt 0x0
	v_cvt_f32_u32_e32 v3, s16
	s_bitcmp1_b32 s14, 0
	v_cmp_gt_i64_e64 s28, s[18:19], 0
	s_cselect_b32 s15, -1, 0
	v_rcp_iflag_f32_e32 v3, v3
	s_xor_b32 s26, s15, -1
	s_bitcmp1_b32 s14, 8
	s_cselect_b32 s14, -1, 0
	v_cndmask_b32_e64 v18, 0, 1, s28
	s_xor_b32 s27, s14, -1
	s_delay_alu instid0(TRANS32_DEP_1)
	v_mul_f32_e32 v3, 0x4f7ffffe, v3
	s_cmp_lg_u64 s[10:11], 0
	s_add_nc_u64 s[14:15], s[0:1], 64
	s_cselect_b32 s1, -1, 0
	s_sub_co_i32 s0, 0, s16
	v_cvt_u32_f32_e32 v3, v3
	s_load_b32 s20, s[14:15], 0x0
	s_wait_xcnt 0x0
	s_mov_b64 s[14:15], 0xffffffff
	s_ashr_i32 s22, s17, 31
	v_mul_lo_u32 v4, s0, v3
	s_delay_alu instid0(VALU_DEP_1) | instskip(SKIP_2) | instid1(VALU_DEP_1)
	v_mul_hi_u32 v4, v3, v4
	s_wait_kmcnt 0x0
	s_mul_i32 s20, s20, s2
	v_add_nc_u32_e32 v19, v3, v4
	s_branch .LBB17_4
.LBB17_2:                               ;   in Loop: Header=BB17_4 Depth=1
	s_or_b32 exec_lo, exec_lo, s0
.LBB17_3:                               ;   in Loop: Header=BB17_4 Depth=1
	v_lshl_add_u64 v[6:7], v[0:1], 2, s[4:5]
	v_add_nc_u64_e32 v[0:1], s[20:21], v[0:1]
	s_delay_alu instid0(VALU_DEP_3)
	v_sub_nc_u32_e32 v3, v8, v4
	global_store_b32 v[6:7], v3, off
	v_cmp_le_i64_e32 vcc_lo, s[12:13], v[0:1]
	s_or_b32 s29, vcc_lo, s29
	s_wait_xcnt 0x0
	s_and_not1_b32 exec_lo, exec_lo, s29
	s_cbranch_execz .LBB17_28
.LBB17_4:                               ; =>This Loop Header: Depth=1
                                        ;     Child Loop BB17_14 Depth 2
                                        ;     Child Loop BB17_24 Depth 2
	v_mov_b64_e32 v[4:5], 0
	s_and_not1_b32 vcc_lo, exec_lo, s27
	s_cbranch_vccnz .LBB17_10
; %bb.5:                                ;   in Loop: Header=BB17_4 Depth=1
	v_or_b32_e32 v3, s17, v1
                                        ; implicit-def: $vgpr4_vgpr5
	s_mov_b32 s0, exec_lo
	s_delay_alu instid0(VALU_DEP_1)
	v_cmpx_ne_u64_e32 0, v[2:3]
	s_xor_b32 s30, exec_lo, s0
	s_cbranch_execz .LBB17_7
; %bb.6:                                ;   in Loop: Header=BB17_4 Depth=1
	s_mov_b32 s23, s22
	v_dual_mov_b32 v9, v2 :: v_dual_ashrrev_i32 v4, 31, v1
	s_add_nc_u64 s[24:25], s[16:17], s[22:23]
	s_delay_alu instid0(SALU_CYCLE_1) | instskip(NEXT) | instid1(VALU_DEP_1)
	s_xor_b64 s[24:25], s[24:25], s[22:23]
	v_mov_b32_e32 v5, v4
	s_cvt_f32_u32 s0, s24
	s_cvt_f32_u32 s2, s25
	s_sub_nc_u64 s[36:37], 0, s[24:25]
	s_delay_alu instid0(VALU_DEP_1) | instskip(NEXT) | instid1(SALU_CYCLE_1)
	v_add_nc_u64_e32 v[6:7], v[0:1], v[4:5]
	s_fmamk_f32 s0, s2, 0x4f800000, s0
	v_mov_b32_e32 v13, v2
	s_delay_alu instid0(SALU_CYCLE_2) | instskip(NEXT) | instid1(VALU_DEP_2)
	v_s_rcp_f32 s0, s0
	v_xor_b32_e32 v8, v6, v4
	s_delay_alu instid0(VALU_DEP_3) | instskip(SKIP_1) | instid1(TRANS32_DEP_1)
	v_dual_mov_b32 v17, v2 :: v_dual_bitop2_b32 v12, v7, v4 bitop3:0x14
	v_xor_b32_e32 v4, s22, v4
	s_mul_f32 s0, s0, 0x5f7ffffc
	s_delay_alu instid0(SALU_CYCLE_3) | instskip(NEXT) | instid1(SALU_CYCLE_3)
	s_mul_f32 s2, s0, 0x2f800000
	s_trunc_f32 s2, s2
	s_delay_alu instid0(SALU_CYCLE_3) | instskip(SKIP_1) | instid1(SALU_CYCLE_2)
	s_fmamk_f32 s0, s2, 0xcf800000, s0
	s_cvt_u32_f32 s35, s2
	s_cvt_u32_f32 s34, s0
	s_delay_alu instid0(SALU_CYCLE_3) | instskip(NEXT) | instid1(SALU_CYCLE_1)
	s_mul_u64 s[38:39], s[36:37], s[34:35]
	s_mul_hi_u32 s41, s34, s39
	s_mul_i32 s40, s34, s39
	s_mul_hi_u32 s2, s34, s38
	s_mul_i32 s23, s35, s38
	s_add_nc_u64 s[40:41], s[2:3], s[40:41]
	s_mul_hi_u32 s0, s35, s38
	s_mul_hi_u32 s31, s35, s39
	s_add_co_u32 s2, s40, s23
	s_add_co_ci_u32 s2, s41, s0
	s_mul_i32 s38, s35, s39
	s_add_co_ci_u32 s39, s31, 0
	s_delay_alu instid0(SALU_CYCLE_1) | instskip(NEXT) | instid1(SALU_CYCLE_1)
	s_add_nc_u64 s[38:39], s[2:3], s[38:39]
	s_add_co_u32 s34, s34, s38
	s_cselect_b32 s0, -1, 0
	s_delay_alu instid0(SALU_CYCLE_1) | instskip(SKIP_1) | instid1(SALU_CYCLE_1)
	s_cmp_lg_u32 s0, 0
	s_add_co_ci_u32 s35, s35, s39
	s_mul_u64 s[36:37], s[36:37], s[34:35]
	s_delay_alu instid0(SALU_CYCLE_1)
	s_mul_hi_u32 s39, s34, s37
	s_mul_i32 s38, s34, s37
	s_mul_hi_u32 s2, s34, s36
	s_mul_i32 s23, s35, s36
	s_add_nc_u64 s[38:39], s[2:3], s[38:39]
	s_mul_hi_u32 s0, s35, s36
	s_mul_hi_u32 s31, s35, s37
	s_add_co_u32 s2, s38, s23
	s_add_co_ci_u32 s2, s39, s0
	s_mul_i32 s36, s35, s37
	s_add_co_ci_u32 s37, s31, 0
	s_delay_alu instid0(SALU_CYCLE_1) | instskip(NEXT) | instid1(SALU_CYCLE_1)
	s_add_nc_u64 s[36:37], s[2:3], s[36:37]
	s_add_co_u32 s0, s34, s36
	s_cselect_b32 s2, -1, 0
	v_mul_hi_u32 v16, v8, s0
	s_cmp_lg_u32 s2, 0
	s_add_co_ci_u32 s2, s35, s37
	s_and_b64 s[34:35], s[0:1], s[14:15]
	v_mul_u64_e32 v[10:11], s[2:3], v[8:9]
	v_mul_u64_e32 v[6:7], s[34:35], v[12:13]
	v_mul_u64_e32 v[14:15], s[2:3], v[12:13]
	s_delay_alu instid0(VALU_DEP_3) | instskip(NEXT) | instid1(VALU_DEP_1)
	v_add_nc_u64_e32 v[10:11], v[16:17], v[10:11]
	v_add_co_u32 v3, vcc_lo, v10, v6
	s_delay_alu instid0(VALU_DEP_2) | instskip(NEXT) | instid1(VALU_DEP_4)
	v_add_co_ci_u32_e32 v16, vcc_lo, v11, v7, vcc_lo
	v_add_co_ci_u32_e32 v15, vcc_lo, 0, v15, vcc_lo
	s_delay_alu instid0(VALU_DEP_1) | instskip(NEXT) | instid1(VALU_DEP_1)
	v_add_nc_u64_e32 v[6:7], v[16:17], v[14:15]
	v_mul_u64_e32 v[10:11], s[24:25], v[6:7]
	s_delay_alu instid0(VALU_DEP_1) | instskip(NEXT) | instid1(VALU_DEP_2)
	v_sub_nc_u32_e32 v3, v12, v11
	v_sub_co_u32 v5, vcc_lo, v8, v10
	s_delay_alu instid0(VALU_DEP_1) | instskip(NEXT) | instid1(VALU_DEP_3)
	v_sub_co_ci_u32_e64 v12, null, v12, v11, vcc_lo
	v_subrev_co_ci_u32_e64 v3, null, s25, v3, vcc_lo
	s_delay_alu instid0(VALU_DEP_3) | instskip(SKIP_1) | instid1(VALU_DEP_3)
	v_sub_co_u32 v8, s0, v5, s24
	v_add_nc_u64_e32 v[10:11], 1, v[6:7]
	v_subrev_co_ci_u32_e64 v3, null, 0, v3, s0
	s_delay_alu instid0(VALU_DEP_3) | instskip(SKIP_1) | instid1(VALU_DEP_3)
	v_cmp_le_u32_e32 vcc_lo, s24, v8
	v_cndmask_b32_e64 v8, 0, -1, vcc_lo
	v_cmp_le_u32_e32 vcc_lo, s25, v3
	v_cndmask_b32_e64 v9, 0, -1, vcc_lo
	;; [unrolled: 2-line block ×4, first 2 shown]
	v_cmp_eq_u32_e32 vcc_lo, s25, v3
	v_cndmask_b32_e32 v3, v9, v8, vcc_lo
	v_cmp_eq_u32_e32 vcc_lo, s25, v12
	v_add_nc_u64_e32 v[8:9], 2, v[6:7]
	v_cndmask_b32_e32 v5, v13, v5, vcc_lo
	s_delay_alu instid0(VALU_DEP_4) | instskip(NEXT) | instid1(VALU_DEP_2)
	v_cmp_ne_u32_e32 vcc_lo, 0, v3
	v_cmp_ne_u32_e64 s0, 0, v5
	s_delay_alu instid0(VALU_DEP_4) | instskip(NEXT) | instid1(VALU_DEP_1)
	v_dual_cndmask_b32 v3, v11, v9, vcc_lo :: v_dual_cndmask_b32 v5, v10, v8, vcc_lo
	v_dual_cndmask_b32 v6, v6, v5, s0 :: v_dual_mov_b32 v5, v4
	s_delay_alu instid0(VALU_DEP_1) | instskip(NEXT) | instid1(VALU_DEP_1)
	v_dual_cndmask_b32 v3, v7, v3, s0 :: v_dual_bitop2_b32 v6, v6, v4 bitop3:0x14
	v_xor_b32_e32 v7, v3, v4
	s_delay_alu instid0(VALU_DEP_1)
	v_sub_nc_u64_e32 v[4:5], v[6:7], v[4:5]
.LBB17_7:                               ;   in Loop: Header=BB17_4 Depth=1
	s_and_not1_saveexec_b32 s0, s30
	s_cbranch_execz .LBB17_9
; %bb.8:                                ;   in Loop: Header=BB17_4 Depth=1
	v_mul_hi_u32 v3, v0, v19
	s_delay_alu instid0(VALU_DEP_1) | instskip(NEXT) | instid1(VALU_DEP_1)
	v_mul_lo_u32 v4, v3, s16
	v_dual_add_nc_u32 v5, 1, v3 :: v_dual_sub_nc_u32 v4, v0, v4
	s_delay_alu instid0(VALU_DEP_1) | instskip(SKIP_1) | instid1(VALU_DEP_2)
	v_subrev_nc_u32_e32 v6, s16, v4
	v_cmp_le_u32_e32 vcc_lo, s16, v4
	v_dual_cndmask_b32 v4, v4, v6 :: v_dual_cndmask_b32 v3, v3, v5
	s_delay_alu instid0(VALU_DEP_1) | instskip(NEXT) | instid1(VALU_DEP_2)
	v_cmp_le_u32_e32 vcc_lo, s16, v4
	v_add_nc_u32_e32 v5, 1, v3
	s_delay_alu instid0(VALU_DEP_1)
	v_dual_cndmask_b32 v4, v3, v5 :: v_dual_mov_b32 v5, v2
.LBB17_9:                               ;   in Loop: Header=BB17_4 Depth=1
	s_or_b32 exec_lo, exec_lo, s0
	s_delay_alu instid0(VALU_DEP_1)
	v_mul_u64_e32 v[4:5], s[18:19], v[4:5]
.LBB17_10:                              ;   in Loop: Header=BB17_4 Depth=1
	s_delay_alu instid0(VALU_DEP_1)
	v_add_nc_u64_e32 v[6:7], s[18:19], v[4:5]
	v_cmp_ne_u32_e64 s0, 1, v18
	s_and_not1_b32 vcc_lo, exec_lo, s26
	s_mov_b32 s2, -1
                                        ; implicit-def: $vgpr8_vgpr9
	s_cbranch_vccnz .LBB17_20
; %bb.11:                               ;   in Loop: Header=BB17_4 Depth=1
	v_mov_b64_e32 v[8:9], v[4:5]
	s_and_b32 vcc_lo, exec_lo, s0
	s_cbranch_vccnz .LBB17_19
; %bb.12:                               ;   in Loop: Header=BB17_4 Depth=1
	v_lshl_add_u64 v[8:9], v[0:1], 1, s[6:7]
	v_mov_b64_e32 v[12:13], v[6:7]
	v_lshl_add_u64 v[10:11], v[4:5], 1, s[8:9]
	s_mov_b32 s0, 0
	global_load_u16 v3, v[8:9], off
	s_wait_xcnt 0x0
	v_mov_b64_e32 v[8:9], v[4:5]
	s_wait_loadcnt 0x0
	v_lshlrev_b32_e32 v3, 16, v3
	s_branch .LBB17_14
.LBB17_13:                              ;   in Loop: Header=BB17_14 Depth=2
	global_load_u16 v16, v[16:17], off
	s_wait_loadcnt 0x0
	v_lshlrev_b32_e32 v20, 16, v16
	s_wait_xcnt 0x0
	v_add_nc_u64_e32 v[16:17], 1, v[14:15]
	s_delay_alu instid0(VALU_DEP_2) | instskip(SKIP_1) | instid1(VALU_DEP_3)
	v_cmp_nge_f32_e32 vcc_lo, v20, v3
	v_dual_cndmask_b32 v13, v15, v13 :: v_dual_cndmask_b32 v12, v14, v12
	v_dual_cndmask_b32 v9, v9, v17 :: v_dual_cndmask_b32 v8, v8, v16
	s_delay_alu instid0(VALU_DEP_1) | instskip(SKIP_1) | instid1(SALU_CYCLE_1)
	v_cmp_ge_i64_e32 vcc_lo, v[8:9], v[12:13]
	s_or_b32 s0, vcc_lo, s0
	s_and_not1_b32 exec_lo, exec_lo, s0
	s_cbranch_execz .LBB17_18
.LBB17_14:                              ;   Parent Loop BB17_4 Depth=1
                                        ; =>  This Inner Loop Header: Depth=2
	s_delay_alu instid0(VALU_DEP_2) | instskip(SKIP_1) | instid1(VALU_DEP_1)
	v_sub_nc_u64_e32 v[14:15], v[12:13], v[8:9]
	s_and_not1_b32 vcc_lo, exec_lo, s1
	v_lshrrev_b64 v[14:15], 1, v[14:15]
	s_delay_alu instid0(VALU_DEP_1)
	v_add_nc_u64_e32 v[14:15], v[14:15], v[8:9]
	s_cbranch_vccnz .LBB17_16
; %bb.15:                               ;   in Loop: Header=BB17_14 Depth=2
	s_delay_alu instid0(VALU_DEP_1)
	v_lshl_add_u64 v[16:17], v[14:15], 3, s[10:11]
	global_load_b64 v[16:17], v[16:17], off
	s_wait_loadcnt 0x0
	s_wait_xcnt 0x0
	v_lshl_add_u64 v[16:17], v[16:17], 1, v[10:11]
	s_cbranch_execnz .LBB17_13
	s_branch .LBB17_17
.LBB17_16:                              ;   in Loop: Header=BB17_14 Depth=2
                                        ; implicit-def: $vgpr16_vgpr17
.LBB17_17:                              ;   in Loop: Header=BB17_14 Depth=2
	s_delay_alu instid0(VALU_DEP_1)
	v_lshl_add_u64 v[16:17], v[14:15], 1, s[8:9]
	s_branch .LBB17_13
.LBB17_18:                              ;   in Loop: Header=BB17_4 Depth=1
	s_or_b32 exec_lo, exec_lo, s0
.LBB17_19:                              ;   in Loop: Header=BB17_4 Depth=1
	s_mov_b32 s2, 0
.LBB17_20:                              ;   in Loop: Header=BB17_4 Depth=1
	s_delay_alu instid0(SALU_CYCLE_1)
	s_and_not1_b32 vcc_lo, exec_lo, s2
	s_cbranch_vccnz .LBB17_3
; %bb.21:                               ;   in Loop: Header=BB17_4 Depth=1
	v_mov_b64_e32 v[8:9], v[4:5]
	s_and_not1_b32 vcc_lo, exec_lo, s28
	s_cbranch_vccnz .LBB17_3
; %bb.22:                               ;   in Loop: Header=BB17_4 Depth=1
	v_lshl_add_u64 v[8:9], v[0:1], 1, s[6:7]
	v_lshl_add_u64 v[10:11], v[4:5], 1, s[8:9]
	s_mov_b32 s0, 0
	global_load_u16 v3, v[8:9], off
	s_wait_xcnt 0x0
	v_mov_b64_e32 v[8:9], v[4:5]
	s_wait_loadcnt 0x0
	v_lshlrev_b32_e32 v3, 16, v3
	s_branch .LBB17_24
.LBB17_23:                              ;   in Loop: Header=BB17_24 Depth=2
	global_load_u16 v5, v[14:15], off
	s_wait_xcnt 0x0
	v_add_nc_u64_e32 v[14:15], 1, v[12:13]
	s_wait_loadcnt 0x0
	v_lshlrev_b32_e32 v5, 16, v5
	s_delay_alu instid0(VALU_DEP_1) | instskip(NEXT) | instid1(VALU_DEP_3)
	v_cmp_gt_f32_e32 vcc_lo, v5, v3
	v_dual_cndmask_b32 v7, v7, v13 :: v_dual_cndmask_b32 v8, v14, v8
	s_delay_alu instid0(VALU_DEP_4) | instskip(NEXT) | instid1(VALU_DEP_1)
	v_dual_cndmask_b32 v6, v6, v12 :: v_dual_cndmask_b32 v9, v15, v9
	v_cmp_ge_i64_e32 vcc_lo, v[8:9], v[6:7]
	s_or_b32 s0, vcc_lo, s0
	s_delay_alu instid0(SALU_CYCLE_1)
	s_and_not1_b32 exec_lo, exec_lo, s0
	s_cbranch_execz .LBB17_2
.LBB17_24:                              ;   Parent Loop BB17_4 Depth=1
                                        ; =>  This Inner Loop Header: Depth=2
	s_delay_alu instid0(VALU_DEP_2) | instskip(SKIP_1) | instid1(VALU_DEP_1)
	v_sub_nc_u64_e32 v[12:13], v[6:7], v[8:9]
	s_and_not1_b32 vcc_lo, exec_lo, s1
	v_lshrrev_b64 v[12:13], 1, v[12:13]
	s_delay_alu instid0(VALU_DEP_1)
	v_add_nc_u64_e32 v[12:13], v[12:13], v[8:9]
	s_cbranch_vccnz .LBB17_26
; %bb.25:                               ;   in Loop: Header=BB17_24 Depth=2
	s_delay_alu instid0(VALU_DEP_1)
	v_lshl_add_u64 v[14:15], v[12:13], 3, s[10:11]
	global_load_b64 v[14:15], v[14:15], off
	s_wait_loadcnt 0x0
	s_wait_xcnt 0x0
	v_lshl_add_u64 v[14:15], v[14:15], 1, v[10:11]
	s_cbranch_execnz .LBB17_23
	s_branch .LBB17_27
.LBB17_26:                              ;   in Loop: Header=BB17_24 Depth=2
                                        ; implicit-def: $vgpr14_vgpr15
.LBB17_27:                              ;   in Loop: Header=BB17_24 Depth=2
	s_delay_alu instid0(VALU_DEP_1)
	v_lshl_add_u64 v[14:15], v[12:13], 1, s[8:9]
	s_branch .LBB17_23
.LBB17_28:
	s_endpgm
	.section	.rodata,"a",@progbits
	.p2align	6, 0x0
	.amdhsa_kernel _ZN2at6native12_GLOBAL__N_124searchsorted_cuda_kernelIN3c108BFloat16EiEEvPT0_PKT_S9_PKllllbb
		.amdhsa_group_segment_fixed_size 0
		.amdhsa_private_segment_fixed_size 0
		.amdhsa_kernarg_size 320
		.amdhsa_user_sgpr_count 2
		.amdhsa_user_sgpr_dispatch_ptr 0
		.amdhsa_user_sgpr_queue_ptr 0
		.amdhsa_user_sgpr_kernarg_segment_ptr 1
		.amdhsa_user_sgpr_dispatch_id 0
		.amdhsa_user_sgpr_kernarg_preload_length 0
		.amdhsa_user_sgpr_kernarg_preload_offset 0
		.amdhsa_user_sgpr_private_segment_size 0
		.amdhsa_wavefront_size32 1
		.amdhsa_uses_dynamic_stack 0
		.amdhsa_enable_private_segment 0
		.amdhsa_system_sgpr_workgroup_id_x 1
		.amdhsa_system_sgpr_workgroup_id_y 0
		.amdhsa_system_sgpr_workgroup_id_z 0
		.amdhsa_system_sgpr_workgroup_info 0
		.amdhsa_system_vgpr_workitem_id 0
		.amdhsa_next_free_vgpr 21
		.amdhsa_next_free_sgpr 42
		.amdhsa_named_barrier_count 0
		.amdhsa_reserve_vcc 1
		.amdhsa_float_round_mode_32 0
		.amdhsa_float_round_mode_16_64 0
		.amdhsa_float_denorm_mode_32 3
		.amdhsa_float_denorm_mode_16_64 3
		.amdhsa_fp16_overflow 0
		.amdhsa_memory_ordered 1
		.amdhsa_forward_progress 1
		.amdhsa_inst_pref_size 13
		.amdhsa_round_robin_scheduling 0
		.amdhsa_exception_fp_ieee_invalid_op 0
		.amdhsa_exception_fp_denorm_src 0
		.amdhsa_exception_fp_ieee_div_zero 0
		.amdhsa_exception_fp_ieee_overflow 0
		.amdhsa_exception_fp_ieee_underflow 0
		.amdhsa_exception_fp_ieee_inexact 0
		.amdhsa_exception_int_div_zero 0
	.end_amdhsa_kernel
	.section	.text._ZN2at6native12_GLOBAL__N_124searchsorted_cuda_kernelIN3c108BFloat16EiEEvPT0_PKT_S9_PKllllbb,"axG",@progbits,_ZN2at6native12_GLOBAL__N_124searchsorted_cuda_kernelIN3c108BFloat16EiEEvPT0_PKT_S9_PKllllbb,comdat
.Lfunc_end17:
	.size	_ZN2at6native12_GLOBAL__N_124searchsorted_cuda_kernelIN3c108BFloat16EiEEvPT0_PKT_S9_PKllllbb, .Lfunc_end17-_ZN2at6native12_GLOBAL__N_124searchsorted_cuda_kernelIN3c108BFloat16EiEEvPT0_PKT_S9_PKllllbb
                                        ; -- End function
	.set _ZN2at6native12_GLOBAL__N_124searchsorted_cuda_kernelIN3c108BFloat16EiEEvPT0_PKT_S9_PKllllbb.num_vgpr, 21
	.set _ZN2at6native12_GLOBAL__N_124searchsorted_cuda_kernelIN3c108BFloat16EiEEvPT0_PKT_S9_PKllllbb.num_agpr, 0
	.set _ZN2at6native12_GLOBAL__N_124searchsorted_cuda_kernelIN3c108BFloat16EiEEvPT0_PKT_S9_PKllllbb.numbered_sgpr, 42
	.set _ZN2at6native12_GLOBAL__N_124searchsorted_cuda_kernelIN3c108BFloat16EiEEvPT0_PKT_S9_PKllllbb.num_named_barrier, 0
	.set _ZN2at6native12_GLOBAL__N_124searchsorted_cuda_kernelIN3c108BFloat16EiEEvPT0_PKT_S9_PKllllbb.private_seg_size, 0
	.set _ZN2at6native12_GLOBAL__N_124searchsorted_cuda_kernelIN3c108BFloat16EiEEvPT0_PKT_S9_PKllllbb.uses_vcc, 1
	.set _ZN2at6native12_GLOBAL__N_124searchsorted_cuda_kernelIN3c108BFloat16EiEEvPT0_PKT_S9_PKllllbb.uses_flat_scratch, 0
	.set _ZN2at6native12_GLOBAL__N_124searchsorted_cuda_kernelIN3c108BFloat16EiEEvPT0_PKT_S9_PKllllbb.has_dyn_sized_stack, 0
	.set _ZN2at6native12_GLOBAL__N_124searchsorted_cuda_kernelIN3c108BFloat16EiEEvPT0_PKT_S9_PKllllbb.has_recursion, 0
	.set _ZN2at6native12_GLOBAL__N_124searchsorted_cuda_kernelIN3c108BFloat16EiEEvPT0_PKT_S9_PKllllbb.has_indirect_call, 0
	.section	.AMDGPU.csdata,"",@progbits
; Kernel info:
; codeLenInByte = 1564
; TotalNumSgprs: 44
; NumVgprs: 21
; ScratchSize: 0
; MemoryBound: 0
; FloatMode: 240
; IeeeMode: 1
; LDSByteSize: 0 bytes/workgroup (compile time only)
; SGPRBlocks: 0
; VGPRBlocks: 1
; NumSGPRsForWavesPerEU: 44
; NumVGPRsForWavesPerEU: 21
; NamedBarCnt: 0
; Occupancy: 16
; WaveLimiterHint : 0
; COMPUTE_PGM_RSRC2:SCRATCH_EN: 0
; COMPUTE_PGM_RSRC2:USER_SGPR: 2
; COMPUTE_PGM_RSRC2:TRAP_HANDLER: 0
; COMPUTE_PGM_RSRC2:TGID_X_EN: 1
; COMPUTE_PGM_RSRC2:TGID_Y_EN: 0
; COMPUTE_PGM_RSRC2:TGID_Z_EN: 0
; COMPUTE_PGM_RSRC2:TIDIG_COMP_CNT: 0
	.section	.AMDGPU.gpr_maximums,"",@progbits
	.set amdgpu.max_num_vgpr, 0
	.set amdgpu.max_num_agpr, 0
	.set amdgpu.max_num_sgpr, 0
	.section	.AMDGPU.csdata,"",@progbits
	.type	__hip_cuid_ec69951b5f8d0c9a,@object ; @__hip_cuid_ec69951b5f8d0c9a
	.section	.bss,"aw",@nobits
	.globl	__hip_cuid_ec69951b5f8d0c9a
__hip_cuid_ec69951b5f8d0c9a:
	.byte	0                               ; 0x0
	.size	__hip_cuid_ec69951b5f8d0c9a, 1

	.ident	"AMD clang version 22.0.0git (https://github.com/RadeonOpenCompute/llvm-project roc-7.2.4 26084 f58b06dce1f9c15707c5f808fd002e18c2accf7e)"
	.section	".note.GNU-stack","",@progbits
	.addrsig
	.addrsig_sym __hip_cuid_ec69951b5f8d0c9a
	.amdgpu_metadata
---
amdhsa.kernels:
  - .args:
      - .address_space:  global
        .offset:         0
        .size:           8
        .value_kind:     global_buffer
      - .address_space:  global
        .offset:         8
        .size:           8
        .value_kind:     global_buffer
      - .address_space:  global
        .offset:         16
        .size:           8
        .value_kind:     global_buffer
      - .address_space:  global
        .offset:         24
        .size:           8
        .value_kind:     global_buffer
      - .offset:         32
        .size:           8
        .value_kind:     by_value
      - .offset:         40
        .size:           8
        .value_kind:     by_value
      - .offset:         48
        .size:           8
        .value_kind:     by_value
      - .offset:         56
        .size:           1
        .value_kind:     by_value
      - .offset:         57
        .size:           1
        .value_kind:     by_value
      - .offset:         64
        .size:           4
        .value_kind:     hidden_block_count_x
      - .offset:         68
        .size:           4
        .value_kind:     hidden_block_count_y
      - .offset:         72
        .size:           4
        .value_kind:     hidden_block_count_z
      - .offset:         76
        .size:           2
        .value_kind:     hidden_group_size_x
      - .offset:         78
        .size:           2
        .value_kind:     hidden_group_size_y
      - .offset:         80
        .size:           2
        .value_kind:     hidden_group_size_z
      - .offset:         82
        .size:           2
        .value_kind:     hidden_remainder_x
      - .offset:         84
        .size:           2
        .value_kind:     hidden_remainder_y
      - .offset:         86
        .size:           2
        .value_kind:     hidden_remainder_z
      - .offset:         104
        .size:           8
        .value_kind:     hidden_global_offset_x
      - .offset:         112
        .size:           8
        .value_kind:     hidden_global_offset_y
      - .offset:         120
        .size:           8
        .value_kind:     hidden_global_offset_z
      - .offset:         128
        .size:           2
        .value_kind:     hidden_grid_dims
    .group_segment_fixed_size: 0
    .kernarg_segment_align: 8
    .kernarg_segment_size: 320
    .language:       OpenCL C
    .language_version:
      - 2
      - 0
    .max_flat_workgroup_size: 1024
    .name:           _ZN2at6native12_GLOBAL__N_124searchsorted_cuda_kernelIhlEEvPT0_PKT_S7_PKllllbb
    .private_segment_fixed_size: 0
    .sgpr_count:     44
    .sgpr_spill_count: 0
    .symbol:         _ZN2at6native12_GLOBAL__N_124searchsorted_cuda_kernelIhlEEvPT0_PKT_S7_PKllllbb.kd
    .uniform_work_group_size: 1
    .uses_dynamic_stack: false
    .vgpr_count:     22
    .vgpr_spill_count: 0
    .wavefront_size: 32
  - .args:
      - .address_space:  global
        .offset:         0
        .size:           8
        .value_kind:     global_buffer
      - .address_space:  global
        .offset:         8
        .size:           8
        .value_kind:     global_buffer
      - .address_space:  global
        .offset:         16
        .size:           8
        .value_kind:     global_buffer
      - .address_space:  global
        .offset:         24
        .size:           8
        .value_kind:     global_buffer
      - .offset:         32
        .size:           8
        .value_kind:     by_value
      - .offset:         40
        .size:           8
        .value_kind:     by_value
      - .offset:         48
        .size:           8
        .value_kind:     by_value
      - .offset:         56
        .size:           1
        .value_kind:     by_value
      - .offset:         57
        .size:           1
        .value_kind:     by_value
      - .offset:         64
        .size:           4
        .value_kind:     hidden_block_count_x
      - .offset:         68
        .size:           4
        .value_kind:     hidden_block_count_y
      - .offset:         72
        .size:           4
        .value_kind:     hidden_block_count_z
      - .offset:         76
        .size:           2
        .value_kind:     hidden_group_size_x
      - .offset:         78
        .size:           2
        .value_kind:     hidden_group_size_y
      - .offset:         80
        .size:           2
        .value_kind:     hidden_group_size_z
      - .offset:         82
        .size:           2
        .value_kind:     hidden_remainder_x
      - .offset:         84
        .size:           2
        .value_kind:     hidden_remainder_y
      - .offset:         86
        .size:           2
        .value_kind:     hidden_remainder_z
      - .offset:         104
        .size:           8
        .value_kind:     hidden_global_offset_x
      - .offset:         112
        .size:           8
        .value_kind:     hidden_global_offset_y
      - .offset:         120
        .size:           8
        .value_kind:     hidden_global_offset_z
      - .offset:         128
        .size:           2
        .value_kind:     hidden_grid_dims
    .group_segment_fixed_size: 0
    .kernarg_segment_align: 8
    .kernarg_segment_size: 320
    .language:       OpenCL C
    .language_version:
      - 2
      - 0
    .max_flat_workgroup_size: 1024
    .name:           _ZN2at6native12_GLOBAL__N_124searchsorted_cuda_kernelIalEEvPT0_PKT_S7_PKllllbb
    .private_segment_fixed_size: 0
    .sgpr_count:     44
    .sgpr_spill_count: 0
    .symbol:         _ZN2at6native12_GLOBAL__N_124searchsorted_cuda_kernelIalEEvPT0_PKT_S7_PKllllbb.kd
    .uniform_work_group_size: 1
    .uses_dynamic_stack: false
    .vgpr_count:     21
    .vgpr_spill_count: 0
    .wavefront_size: 32
  - .args:
      - .address_space:  global
        .offset:         0
        .size:           8
        .value_kind:     global_buffer
      - .address_space:  global
        .offset:         8
        .size:           8
        .value_kind:     global_buffer
      - .address_space:  global
        .offset:         16
        .size:           8
        .value_kind:     global_buffer
      - .address_space:  global
        .offset:         24
        .size:           8
        .value_kind:     global_buffer
      - .offset:         32
        .size:           8
        .value_kind:     by_value
      - .offset:         40
        .size:           8
        .value_kind:     by_value
      - .offset:         48
        .size:           8
        .value_kind:     by_value
      - .offset:         56
        .size:           1
        .value_kind:     by_value
      - .offset:         57
        .size:           1
        .value_kind:     by_value
      - .offset:         64
        .size:           4
        .value_kind:     hidden_block_count_x
      - .offset:         68
        .size:           4
        .value_kind:     hidden_block_count_y
      - .offset:         72
        .size:           4
        .value_kind:     hidden_block_count_z
      - .offset:         76
        .size:           2
        .value_kind:     hidden_group_size_x
      - .offset:         78
        .size:           2
        .value_kind:     hidden_group_size_y
      - .offset:         80
        .size:           2
        .value_kind:     hidden_group_size_z
      - .offset:         82
        .size:           2
        .value_kind:     hidden_remainder_x
      - .offset:         84
        .size:           2
        .value_kind:     hidden_remainder_y
      - .offset:         86
        .size:           2
        .value_kind:     hidden_remainder_z
      - .offset:         104
        .size:           8
        .value_kind:     hidden_global_offset_x
      - .offset:         112
        .size:           8
        .value_kind:     hidden_global_offset_y
      - .offset:         120
        .size:           8
        .value_kind:     hidden_global_offset_z
      - .offset:         128
        .size:           2
        .value_kind:     hidden_grid_dims
    .group_segment_fixed_size: 0
    .kernarg_segment_align: 8
    .kernarg_segment_size: 320
    .language:       OpenCL C
    .language_version:
      - 2
      - 0
    .max_flat_workgroup_size: 1024
    .name:           _ZN2at6native12_GLOBAL__N_124searchsorted_cuda_kernelIilEEvPT0_PKT_S7_PKllllbb
    .private_segment_fixed_size: 0
    .sgpr_count:     44
    .sgpr_spill_count: 0
    .symbol:         _ZN2at6native12_GLOBAL__N_124searchsorted_cuda_kernelIilEEvPT0_PKT_S7_PKllllbb.kd
    .uniform_work_group_size: 1
    .uses_dynamic_stack: false
    .vgpr_count:     21
    .vgpr_spill_count: 0
    .wavefront_size: 32
  - .args:
      - .address_space:  global
        .offset:         0
        .size:           8
        .value_kind:     global_buffer
      - .address_space:  global
        .offset:         8
        .size:           8
        .value_kind:     global_buffer
      - .address_space:  global
        .offset:         16
        .size:           8
        .value_kind:     global_buffer
      - .address_space:  global
        .offset:         24
        .size:           8
        .value_kind:     global_buffer
      - .offset:         32
        .size:           8
        .value_kind:     by_value
      - .offset:         40
        .size:           8
        .value_kind:     by_value
      - .offset:         48
        .size:           8
        .value_kind:     by_value
      - .offset:         56
        .size:           1
        .value_kind:     by_value
      - .offset:         57
        .size:           1
        .value_kind:     by_value
      - .offset:         64
        .size:           4
        .value_kind:     hidden_block_count_x
      - .offset:         68
        .size:           4
        .value_kind:     hidden_block_count_y
      - .offset:         72
        .size:           4
        .value_kind:     hidden_block_count_z
      - .offset:         76
        .size:           2
        .value_kind:     hidden_group_size_x
      - .offset:         78
        .size:           2
        .value_kind:     hidden_group_size_y
      - .offset:         80
        .size:           2
        .value_kind:     hidden_group_size_z
      - .offset:         82
        .size:           2
        .value_kind:     hidden_remainder_x
      - .offset:         84
        .size:           2
        .value_kind:     hidden_remainder_y
      - .offset:         86
        .size:           2
        .value_kind:     hidden_remainder_z
      - .offset:         104
        .size:           8
        .value_kind:     hidden_global_offset_x
      - .offset:         112
        .size:           8
        .value_kind:     hidden_global_offset_y
      - .offset:         120
        .size:           8
        .value_kind:     hidden_global_offset_z
      - .offset:         128
        .size:           2
        .value_kind:     hidden_grid_dims
    .group_segment_fixed_size: 0
    .kernarg_segment_align: 8
    .kernarg_segment_size: 320
    .language:       OpenCL C
    .language_version:
      - 2
      - 0
    .max_flat_workgroup_size: 1024
    .name:           _ZN2at6native12_GLOBAL__N_124searchsorted_cuda_kernelIllEEvPT0_PKT_S7_PKllllbb
    .private_segment_fixed_size: 0
    .sgpr_count:     44
    .sgpr_spill_count: 0
    .symbol:         _ZN2at6native12_GLOBAL__N_124searchsorted_cuda_kernelIllEEvPT0_PKT_S7_PKllllbb.kd
    .uniform_work_group_size: 1
    .uses_dynamic_stack: false
    .vgpr_count:     22
    .vgpr_spill_count: 0
    .wavefront_size: 32
  - .args:
      - .address_space:  global
        .offset:         0
        .size:           8
        .value_kind:     global_buffer
      - .address_space:  global
        .offset:         8
        .size:           8
        .value_kind:     global_buffer
      - .address_space:  global
        .offset:         16
        .size:           8
        .value_kind:     global_buffer
      - .address_space:  global
        .offset:         24
        .size:           8
        .value_kind:     global_buffer
      - .offset:         32
        .size:           8
        .value_kind:     by_value
      - .offset:         40
        .size:           8
        .value_kind:     by_value
      - .offset:         48
        .size:           8
        .value_kind:     by_value
      - .offset:         56
        .size:           1
        .value_kind:     by_value
      - .offset:         57
        .size:           1
        .value_kind:     by_value
      - .offset:         64
        .size:           4
        .value_kind:     hidden_block_count_x
      - .offset:         68
        .size:           4
        .value_kind:     hidden_block_count_y
      - .offset:         72
        .size:           4
        .value_kind:     hidden_block_count_z
      - .offset:         76
        .size:           2
        .value_kind:     hidden_group_size_x
      - .offset:         78
        .size:           2
        .value_kind:     hidden_group_size_y
      - .offset:         80
        .size:           2
        .value_kind:     hidden_group_size_z
      - .offset:         82
        .size:           2
        .value_kind:     hidden_remainder_x
      - .offset:         84
        .size:           2
        .value_kind:     hidden_remainder_y
      - .offset:         86
        .size:           2
        .value_kind:     hidden_remainder_z
      - .offset:         104
        .size:           8
        .value_kind:     hidden_global_offset_x
      - .offset:         112
        .size:           8
        .value_kind:     hidden_global_offset_y
      - .offset:         120
        .size:           8
        .value_kind:     hidden_global_offset_z
      - .offset:         128
        .size:           2
        .value_kind:     hidden_grid_dims
    .group_segment_fixed_size: 0
    .kernarg_segment_align: 8
    .kernarg_segment_size: 320
    .language:       OpenCL C
    .language_version:
      - 2
      - 0
    .max_flat_workgroup_size: 1024
    .name:           _ZN2at6native12_GLOBAL__N_124searchsorted_cuda_kernelIslEEvPT0_PKT_S7_PKllllbb
    .private_segment_fixed_size: 0
    .sgpr_count:     44
    .sgpr_spill_count: 0
    .symbol:         _ZN2at6native12_GLOBAL__N_124searchsorted_cuda_kernelIslEEvPT0_PKT_S7_PKllllbb.kd
    .uniform_work_group_size: 1
    .uses_dynamic_stack: false
    .vgpr_count:     21
    .vgpr_spill_count: 0
    .wavefront_size: 32
  - .args:
      - .address_space:  global
        .offset:         0
        .size:           8
        .value_kind:     global_buffer
      - .address_space:  global
        .offset:         8
        .size:           8
        .value_kind:     global_buffer
      - .address_space:  global
        .offset:         16
        .size:           8
        .value_kind:     global_buffer
      - .address_space:  global
        .offset:         24
        .size:           8
        .value_kind:     global_buffer
      - .offset:         32
        .size:           8
        .value_kind:     by_value
      - .offset:         40
        .size:           8
        .value_kind:     by_value
      - .offset:         48
        .size:           8
        .value_kind:     by_value
      - .offset:         56
        .size:           1
        .value_kind:     by_value
      - .offset:         57
        .size:           1
        .value_kind:     by_value
      - .offset:         64
        .size:           4
        .value_kind:     hidden_block_count_x
      - .offset:         68
        .size:           4
        .value_kind:     hidden_block_count_y
      - .offset:         72
        .size:           4
        .value_kind:     hidden_block_count_z
      - .offset:         76
        .size:           2
        .value_kind:     hidden_group_size_x
      - .offset:         78
        .size:           2
        .value_kind:     hidden_group_size_y
      - .offset:         80
        .size:           2
        .value_kind:     hidden_group_size_z
      - .offset:         82
        .size:           2
        .value_kind:     hidden_remainder_x
      - .offset:         84
        .size:           2
        .value_kind:     hidden_remainder_y
      - .offset:         86
        .size:           2
        .value_kind:     hidden_remainder_z
      - .offset:         104
        .size:           8
        .value_kind:     hidden_global_offset_x
      - .offset:         112
        .size:           8
        .value_kind:     hidden_global_offset_y
      - .offset:         120
        .size:           8
        .value_kind:     hidden_global_offset_z
      - .offset:         128
        .size:           2
        .value_kind:     hidden_grid_dims
    .group_segment_fixed_size: 0
    .kernarg_segment_align: 8
    .kernarg_segment_size: 320
    .language:       OpenCL C
    .language_version:
      - 2
      - 0
    .max_flat_workgroup_size: 1024
    .name:           _ZN2at6native12_GLOBAL__N_124searchsorted_cuda_kernelIdlEEvPT0_PKT_S7_PKllllbb
    .private_segment_fixed_size: 0
    .sgpr_count:     44
    .sgpr_spill_count: 0
    .symbol:         _ZN2at6native12_GLOBAL__N_124searchsorted_cuda_kernelIdlEEvPT0_PKT_S7_PKllllbb.kd
    .uniform_work_group_size: 1
    .uses_dynamic_stack: false
    .vgpr_count:     22
    .vgpr_spill_count: 0
    .wavefront_size: 32
  - .args:
      - .address_space:  global
        .offset:         0
        .size:           8
        .value_kind:     global_buffer
      - .address_space:  global
        .offset:         8
        .size:           8
        .value_kind:     global_buffer
      - .address_space:  global
        .offset:         16
        .size:           8
        .value_kind:     global_buffer
      - .address_space:  global
        .offset:         24
        .size:           8
        .value_kind:     global_buffer
      - .offset:         32
        .size:           8
        .value_kind:     by_value
      - .offset:         40
        .size:           8
        .value_kind:     by_value
      - .offset:         48
        .size:           8
        .value_kind:     by_value
      - .offset:         56
        .size:           1
        .value_kind:     by_value
      - .offset:         57
        .size:           1
        .value_kind:     by_value
      - .offset:         64
        .size:           4
        .value_kind:     hidden_block_count_x
      - .offset:         68
        .size:           4
        .value_kind:     hidden_block_count_y
      - .offset:         72
        .size:           4
        .value_kind:     hidden_block_count_z
      - .offset:         76
        .size:           2
        .value_kind:     hidden_group_size_x
      - .offset:         78
        .size:           2
        .value_kind:     hidden_group_size_y
      - .offset:         80
        .size:           2
        .value_kind:     hidden_group_size_z
      - .offset:         82
        .size:           2
        .value_kind:     hidden_remainder_x
      - .offset:         84
        .size:           2
        .value_kind:     hidden_remainder_y
      - .offset:         86
        .size:           2
        .value_kind:     hidden_remainder_z
      - .offset:         104
        .size:           8
        .value_kind:     hidden_global_offset_x
      - .offset:         112
        .size:           8
        .value_kind:     hidden_global_offset_y
      - .offset:         120
        .size:           8
        .value_kind:     hidden_global_offset_z
      - .offset:         128
        .size:           2
        .value_kind:     hidden_grid_dims
    .group_segment_fixed_size: 0
    .kernarg_segment_align: 8
    .kernarg_segment_size: 320
    .language:       OpenCL C
    .language_version:
      - 2
      - 0
    .max_flat_workgroup_size: 1024
    .name:           _ZN2at6native12_GLOBAL__N_124searchsorted_cuda_kernelIflEEvPT0_PKT_S7_PKllllbb
    .private_segment_fixed_size: 0
    .sgpr_count:     44
    .sgpr_spill_count: 0
    .symbol:         _ZN2at6native12_GLOBAL__N_124searchsorted_cuda_kernelIflEEvPT0_PKT_S7_PKllllbb.kd
    .uniform_work_group_size: 1
    .uses_dynamic_stack: false
    .vgpr_count:     21
    .vgpr_spill_count: 0
    .wavefront_size: 32
  - .args:
      - .address_space:  global
        .offset:         0
        .size:           8
        .value_kind:     global_buffer
      - .address_space:  global
        .offset:         8
        .size:           8
        .value_kind:     global_buffer
      - .address_space:  global
        .offset:         16
        .size:           8
        .value_kind:     global_buffer
      - .address_space:  global
        .offset:         24
        .size:           8
        .value_kind:     global_buffer
      - .offset:         32
        .size:           8
        .value_kind:     by_value
      - .offset:         40
        .size:           8
        .value_kind:     by_value
      - .offset:         48
        .size:           8
        .value_kind:     by_value
      - .offset:         56
        .size:           1
        .value_kind:     by_value
      - .offset:         57
        .size:           1
        .value_kind:     by_value
      - .offset:         64
        .size:           4
        .value_kind:     hidden_block_count_x
      - .offset:         68
        .size:           4
        .value_kind:     hidden_block_count_y
      - .offset:         72
        .size:           4
        .value_kind:     hidden_block_count_z
      - .offset:         76
        .size:           2
        .value_kind:     hidden_group_size_x
      - .offset:         78
        .size:           2
        .value_kind:     hidden_group_size_y
      - .offset:         80
        .size:           2
        .value_kind:     hidden_group_size_z
      - .offset:         82
        .size:           2
        .value_kind:     hidden_remainder_x
      - .offset:         84
        .size:           2
        .value_kind:     hidden_remainder_y
      - .offset:         86
        .size:           2
        .value_kind:     hidden_remainder_z
      - .offset:         104
        .size:           8
        .value_kind:     hidden_global_offset_x
      - .offset:         112
        .size:           8
        .value_kind:     hidden_global_offset_y
      - .offset:         120
        .size:           8
        .value_kind:     hidden_global_offset_z
      - .offset:         128
        .size:           2
        .value_kind:     hidden_grid_dims
    .group_segment_fixed_size: 0
    .kernarg_segment_align: 8
    .kernarg_segment_size: 320
    .language:       OpenCL C
    .language_version:
      - 2
      - 0
    .max_flat_workgroup_size: 1024
    .name:           _ZN2at6native12_GLOBAL__N_124searchsorted_cuda_kernelIN3c104HalfElEEvPT0_PKT_S9_PKllllbb
    .private_segment_fixed_size: 0
    .sgpr_count:     44
    .sgpr_spill_count: 0
    .symbol:         _ZN2at6native12_GLOBAL__N_124searchsorted_cuda_kernelIN3c104HalfElEEvPT0_PKT_S9_PKllllbb.kd
    .uniform_work_group_size: 1
    .uses_dynamic_stack: false
    .vgpr_count:     21
    .vgpr_spill_count: 0
    .wavefront_size: 32
  - .args:
      - .address_space:  global
        .offset:         0
        .size:           8
        .value_kind:     global_buffer
      - .address_space:  global
        .offset:         8
        .size:           8
        .value_kind:     global_buffer
      - .address_space:  global
        .offset:         16
        .size:           8
        .value_kind:     global_buffer
      - .address_space:  global
        .offset:         24
        .size:           8
        .value_kind:     global_buffer
      - .offset:         32
        .size:           8
        .value_kind:     by_value
      - .offset:         40
        .size:           8
        .value_kind:     by_value
      - .offset:         48
        .size:           8
        .value_kind:     by_value
      - .offset:         56
        .size:           1
        .value_kind:     by_value
      - .offset:         57
        .size:           1
        .value_kind:     by_value
      - .offset:         64
        .size:           4
        .value_kind:     hidden_block_count_x
      - .offset:         68
        .size:           4
        .value_kind:     hidden_block_count_y
      - .offset:         72
        .size:           4
        .value_kind:     hidden_block_count_z
      - .offset:         76
        .size:           2
        .value_kind:     hidden_group_size_x
      - .offset:         78
        .size:           2
        .value_kind:     hidden_group_size_y
      - .offset:         80
        .size:           2
        .value_kind:     hidden_group_size_z
      - .offset:         82
        .size:           2
        .value_kind:     hidden_remainder_x
      - .offset:         84
        .size:           2
        .value_kind:     hidden_remainder_y
      - .offset:         86
        .size:           2
        .value_kind:     hidden_remainder_z
      - .offset:         104
        .size:           8
        .value_kind:     hidden_global_offset_x
      - .offset:         112
        .size:           8
        .value_kind:     hidden_global_offset_y
      - .offset:         120
        .size:           8
        .value_kind:     hidden_global_offset_z
      - .offset:         128
        .size:           2
        .value_kind:     hidden_grid_dims
    .group_segment_fixed_size: 0
    .kernarg_segment_align: 8
    .kernarg_segment_size: 320
    .language:       OpenCL C
    .language_version:
      - 2
      - 0
    .max_flat_workgroup_size: 1024
    .name:           _ZN2at6native12_GLOBAL__N_124searchsorted_cuda_kernelIN3c108BFloat16ElEEvPT0_PKT_S9_PKllllbb
    .private_segment_fixed_size: 0
    .sgpr_count:     44
    .sgpr_spill_count: 0
    .symbol:         _ZN2at6native12_GLOBAL__N_124searchsorted_cuda_kernelIN3c108BFloat16ElEEvPT0_PKT_S9_PKllllbb.kd
    .uniform_work_group_size: 1
    .uses_dynamic_stack: false
    .vgpr_count:     21
    .vgpr_spill_count: 0
    .wavefront_size: 32
  - .args:
      - .address_space:  global
        .offset:         0
        .size:           8
        .value_kind:     global_buffer
      - .address_space:  global
        .offset:         8
        .size:           8
        .value_kind:     global_buffer
      - .address_space:  global
        .offset:         16
        .size:           8
        .value_kind:     global_buffer
      - .address_space:  global
        .offset:         24
        .size:           8
        .value_kind:     global_buffer
      - .offset:         32
        .size:           8
        .value_kind:     by_value
      - .offset:         40
        .size:           8
        .value_kind:     by_value
      - .offset:         48
        .size:           8
        .value_kind:     by_value
      - .offset:         56
        .size:           1
        .value_kind:     by_value
      - .offset:         57
        .size:           1
        .value_kind:     by_value
      - .offset:         64
        .size:           4
        .value_kind:     hidden_block_count_x
      - .offset:         68
        .size:           4
        .value_kind:     hidden_block_count_y
      - .offset:         72
        .size:           4
        .value_kind:     hidden_block_count_z
      - .offset:         76
        .size:           2
        .value_kind:     hidden_group_size_x
      - .offset:         78
        .size:           2
        .value_kind:     hidden_group_size_y
      - .offset:         80
        .size:           2
        .value_kind:     hidden_group_size_z
      - .offset:         82
        .size:           2
        .value_kind:     hidden_remainder_x
      - .offset:         84
        .size:           2
        .value_kind:     hidden_remainder_y
      - .offset:         86
        .size:           2
        .value_kind:     hidden_remainder_z
      - .offset:         104
        .size:           8
        .value_kind:     hidden_global_offset_x
      - .offset:         112
        .size:           8
        .value_kind:     hidden_global_offset_y
      - .offset:         120
        .size:           8
        .value_kind:     hidden_global_offset_z
      - .offset:         128
        .size:           2
        .value_kind:     hidden_grid_dims
    .group_segment_fixed_size: 0
    .kernarg_segment_align: 8
    .kernarg_segment_size: 320
    .language:       OpenCL C
    .language_version:
      - 2
      - 0
    .max_flat_workgroup_size: 1024
    .name:           _ZN2at6native12_GLOBAL__N_124searchsorted_cuda_kernelIhiEEvPT0_PKT_S7_PKllllbb
    .private_segment_fixed_size: 0
    .sgpr_count:     44
    .sgpr_spill_count: 0
    .symbol:         _ZN2at6native12_GLOBAL__N_124searchsorted_cuda_kernelIhiEEvPT0_PKT_S7_PKllllbb.kd
    .uniform_work_group_size: 1
    .uses_dynamic_stack: false
    .vgpr_count:     22
    .vgpr_spill_count: 0
    .wavefront_size: 32
  - .args:
      - .address_space:  global
        .offset:         0
        .size:           8
        .value_kind:     global_buffer
      - .address_space:  global
        .offset:         8
        .size:           8
        .value_kind:     global_buffer
      - .address_space:  global
        .offset:         16
        .size:           8
        .value_kind:     global_buffer
      - .address_space:  global
        .offset:         24
        .size:           8
        .value_kind:     global_buffer
      - .offset:         32
        .size:           8
        .value_kind:     by_value
      - .offset:         40
        .size:           8
        .value_kind:     by_value
      - .offset:         48
        .size:           8
        .value_kind:     by_value
      - .offset:         56
        .size:           1
        .value_kind:     by_value
      - .offset:         57
        .size:           1
        .value_kind:     by_value
      - .offset:         64
        .size:           4
        .value_kind:     hidden_block_count_x
      - .offset:         68
        .size:           4
        .value_kind:     hidden_block_count_y
      - .offset:         72
        .size:           4
        .value_kind:     hidden_block_count_z
      - .offset:         76
        .size:           2
        .value_kind:     hidden_group_size_x
      - .offset:         78
        .size:           2
        .value_kind:     hidden_group_size_y
      - .offset:         80
        .size:           2
        .value_kind:     hidden_group_size_z
      - .offset:         82
        .size:           2
        .value_kind:     hidden_remainder_x
      - .offset:         84
        .size:           2
        .value_kind:     hidden_remainder_y
      - .offset:         86
        .size:           2
        .value_kind:     hidden_remainder_z
      - .offset:         104
        .size:           8
        .value_kind:     hidden_global_offset_x
      - .offset:         112
        .size:           8
        .value_kind:     hidden_global_offset_y
      - .offset:         120
        .size:           8
        .value_kind:     hidden_global_offset_z
      - .offset:         128
        .size:           2
        .value_kind:     hidden_grid_dims
    .group_segment_fixed_size: 0
    .kernarg_segment_align: 8
    .kernarg_segment_size: 320
    .language:       OpenCL C
    .language_version:
      - 2
      - 0
    .max_flat_workgroup_size: 1024
    .name:           _ZN2at6native12_GLOBAL__N_124searchsorted_cuda_kernelIaiEEvPT0_PKT_S7_PKllllbb
    .private_segment_fixed_size: 0
    .sgpr_count:     44
    .sgpr_spill_count: 0
    .symbol:         _ZN2at6native12_GLOBAL__N_124searchsorted_cuda_kernelIaiEEvPT0_PKT_S7_PKllllbb.kd
    .uniform_work_group_size: 1
    .uses_dynamic_stack: false
    .vgpr_count:     21
    .vgpr_spill_count: 0
    .wavefront_size: 32
  - .args:
      - .address_space:  global
        .offset:         0
        .size:           8
        .value_kind:     global_buffer
      - .address_space:  global
        .offset:         8
        .size:           8
        .value_kind:     global_buffer
      - .address_space:  global
        .offset:         16
        .size:           8
        .value_kind:     global_buffer
      - .address_space:  global
        .offset:         24
        .size:           8
        .value_kind:     global_buffer
      - .offset:         32
        .size:           8
        .value_kind:     by_value
      - .offset:         40
        .size:           8
        .value_kind:     by_value
      - .offset:         48
        .size:           8
        .value_kind:     by_value
      - .offset:         56
        .size:           1
        .value_kind:     by_value
      - .offset:         57
        .size:           1
        .value_kind:     by_value
      - .offset:         64
        .size:           4
        .value_kind:     hidden_block_count_x
      - .offset:         68
        .size:           4
        .value_kind:     hidden_block_count_y
      - .offset:         72
        .size:           4
        .value_kind:     hidden_block_count_z
      - .offset:         76
        .size:           2
        .value_kind:     hidden_group_size_x
      - .offset:         78
        .size:           2
        .value_kind:     hidden_group_size_y
      - .offset:         80
        .size:           2
        .value_kind:     hidden_group_size_z
      - .offset:         82
        .size:           2
        .value_kind:     hidden_remainder_x
      - .offset:         84
        .size:           2
        .value_kind:     hidden_remainder_y
      - .offset:         86
        .size:           2
        .value_kind:     hidden_remainder_z
      - .offset:         104
        .size:           8
        .value_kind:     hidden_global_offset_x
      - .offset:         112
        .size:           8
        .value_kind:     hidden_global_offset_y
      - .offset:         120
        .size:           8
        .value_kind:     hidden_global_offset_z
      - .offset:         128
        .size:           2
        .value_kind:     hidden_grid_dims
    .group_segment_fixed_size: 0
    .kernarg_segment_align: 8
    .kernarg_segment_size: 320
    .language:       OpenCL C
    .language_version:
      - 2
      - 0
    .max_flat_workgroup_size: 1024
    .name:           _ZN2at6native12_GLOBAL__N_124searchsorted_cuda_kernelIiiEEvPT0_PKT_S7_PKllllbb
    .private_segment_fixed_size: 0
    .sgpr_count:     44
    .sgpr_spill_count: 0
    .symbol:         _ZN2at6native12_GLOBAL__N_124searchsorted_cuda_kernelIiiEEvPT0_PKT_S7_PKllllbb.kd
    .uniform_work_group_size: 1
    .uses_dynamic_stack: false
    .vgpr_count:     21
    .vgpr_spill_count: 0
    .wavefront_size: 32
  - .args:
      - .address_space:  global
        .offset:         0
        .size:           8
        .value_kind:     global_buffer
      - .address_space:  global
        .offset:         8
        .size:           8
        .value_kind:     global_buffer
      - .address_space:  global
        .offset:         16
        .size:           8
        .value_kind:     global_buffer
      - .address_space:  global
        .offset:         24
        .size:           8
        .value_kind:     global_buffer
      - .offset:         32
        .size:           8
        .value_kind:     by_value
      - .offset:         40
        .size:           8
        .value_kind:     by_value
      - .offset:         48
        .size:           8
        .value_kind:     by_value
      - .offset:         56
        .size:           1
        .value_kind:     by_value
      - .offset:         57
        .size:           1
        .value_kind:     by_value
      - .offset:         64
        .size:           4
        .value_kind:     hidden_block_count_x
      - .offset:         68
        .size:           4
        .value_kind:     hidden_block_count_y
      - .offset:         72
        .size:           4
        .value_kind:     hidden_block_count_z
      - .offset:         76
        .size:           2
        .value_kind:     hidden_group_size_x
      - .offset:         78
        .size:           2
        .value_kind:     hidden_group_size_y
      - .offset:         80
        .size:           2
        .value_kind:     hidden_group_size_z
      - .offset:         82
        .size:           2
        .value_kind:     hidden_remainder_x
      - .offset:         84
        .size:           2
        .value_kind:     hidden_remainder_y
      - .offset:         86
        .size:           2
        .value_kind:     hidden_remainder_z
      - .offset:         104
        .size:           8
        .value_kind:     hidden_global_offset_x
      - .offset:         112
        .size:           8
        .value_kind:     hidden_global_offset_y
      - .offset:         120
        .size:           8
        .value_kind:     hidden_global_offset_z
      - .offset:         128
        .size:           2
        .value_kind:     hidden_grid_dims
    .group_segment_fixed_size: 0
    .kernarg_segment_align: 8
    .kernarg_segment_size: 320
    .language:       OpenCL C
    .language_version:
      - 2
      - 0
    .max_flat_workgroup_size: 1024
    .name:           _ZN2at6native12_GLOBAL__N_124searchsorted_cuda_kernelIliEEvPT0_PKT_S7_PKllllbb
    .private_segment_fixed_size: 0
    .sgpr_count:     44
    .sgpr_spill_count: 0
    .symbol:         _ZN2at6native12_GLOBAL__N_124searchsorted_cuda_kernelIliEEvPT0_PKT_S7_PKllllbb.kd
    .uniform_work_group_size: 1
    .uses_dynamic_stack: false
    .vgpr_count:     22
    .vgpr_spill_count: 0
    .wavefront_size: 32
  - .args:
      - .address_space:  global
        .offset:         0
        .size:           8
        .value_kind:     global_buffer
      - .address_space:  global
        .offset:         8
        .size:           8
        .value_kind:     global_buffer
      - .address_space:  global
        .offset:         16
        .size:           8
        .value_kind:     global_buffer
      - .address_space:  global
        .offset:         24
        .size:           8
        .value_kind:     global_buffer
      - .offset:         32
        .size:           8
        .value_kind:     by_value
      - .offset:         40
        .size:           8
        .value_kind:     by_value
      - .offset:         48
        .size:           8
        .value_kind:     by_value
      - .offset:         56
        .size:           1
        .value_kind:     by_value
      - .offset:         57
        .size:           1
        .value_kind:     by_value
      - .offset:         64
        .size:           4
        .value_kind:     hidden_block_count_x
      - .offset:         68
        .size:           4
        .value_kind:     hidden_block_count_y
      - .offset:         72
        .size:           4
        .value_kind:     hidden_block_count_z
      - .offset:         76
        .size:           2
        .value_kind:     hidden_group_size_x
      - .offset:         78
        .size:           2
        .value_kind:     hidden_group_size_y
      - .offset:         80
        .size:           2
        .value_kind:     hidden_group_size_z
      - .offset:         82
        .size:           2
        .value_kind:     hidden_remainder_x
      - .offset:         84
        .size:           2
        .value_kind:     hidden_remainder_y
      - .offset:         86
        .size:           2
        .value_kind:     hidden_remainder_z
      - .offset:         104
        .size:           8
        .value_kind:     hidden_global_offset_x
      - .offset:         112
        .size:           8
        .value_kind:     hidden_global_offset_y
      - .offset:         120
        .size:           8
        .value_kind:     hidden_global_offset_z
      - .offset:         128
        .size:           2
        .value_kind:     hidden_grid_dims
    .group_segment_fixed_size: 0
    .kernarg_segment_align: 8
    .kernarg_segment_size: 320
    .language:       OpenCL C
    .language_version:
      - 2
      - 0
    .max_flat_workgroup_size: 1024
    .name:           _ZN2at6native12_GLOBAL__N_124searchsorted_cuda_kernelIsiEEvPT0_PKT_S7_PKllllbb
    .private_segment_fixed_size: 0
    .sgpr_count:     44
    .sgpr_spill_count: 0
    .symbol:         _ZN2at6native12_GLOBAL__N_124searchsorted_cuda_kernelIsiEEvPT0_PKT_S7_PKllllbb.kd
    .uniform_work_group_size: 1
    .uses_dynamic_stack: false
    .vgpr_count:     21
    .vgpr_spill_count: 0
    .wavefront_size: 32
  - .args:
      - .address_space:  global
        .offset:         0
        .size:           8
        .value_kind:     global_buffer
      - .address_space:  global
        .offset:         8
        .size:           8
        .value_kind:     global_buffer
      - .address_space:  global
        .offset:         16
        .size:           8
        .value_kind:     global_buffer
      - .address_space:  global
        .offset:         24
        .size:           8
        .value_kind:     global_buffer
      - .offset:         32
        .size:           8
        .value_kind:     by_value
      - .offset:         40
        .size:           8
        .value_kind:     by_value
      - .offset:         48
        .size:           8
        .value_kind:     by_value
      - .offset:         56
        .size:           1
        .value_kind:     by_value
      - .offset:         57
        .size:           1
        .value_kind:     by_value
      - .offset:         64
        .size:           4
        .value_kind:     hidden_block_count_x
      - .offset:         68
        .size:           4
        .value_kind:     hidden_block_count_y
      - .offset:         72
        .size:           4
        .value_kind:     hidden_block_count_z
      - .offset:         76
        .size:           2
        .value_kind:     hidden_group_size_x
      - .offset:         78
        .size:           2
        .value_kind:     hidden_group_size_y
      - .offset:         80
        .size:           2
        .value_kind:     hidden_group_size_z
      - .offset:         82
        .size:           2
        .value_kind:     hidden_remainder_x
      - .offset:         84
        .size:           2
        .value_kind:     hidden_remainder_y
      - .offset:         86
        .size:           2
        .value_kind:     hidden_remainder_z
      - .offset:         104
        .size:           8
        .value_kind:     hidden_global_offset_x
      - .offset:         112
        .size:           8
        .value_kind:     hidden_global_offset_y
      - .offset:         120
        .size:           8
        .value_kind:     hidden_global_offset_z
      - .offset:         128
        .size:           2
        .value_kind:     hidden_grid_dims
    .group_segment_fixed_size: 0
    .kernarg_segment_align: 8
    .kernarg_segment_size: 320
    .language:       OpenCL C
    .language_version:
      - 2
      - 0
    .max_flat_workgroup_size: 1024
    .name:           _ZN2at6native12_GLOBAL__N_124searchsorted_cuda_kernelIdiEEvPT0_PKT_S7_PKllllbb
    .private_segment_fixed_size: 0
    .sgpr_count:     44
    .sgpr_spill_count: 0
    .symbol:         _ZN2at6native12_GLOBAL__N_124searchsorted_cuda_kernelIdiEEvPT0_PKT_S7_PKllllbb.kd
    .uniform_work_group_size: 1
    .uses_dynamic_stack: false
    .vgpr_count:     22
    .vgpr_spill_count: 0
    .wavefront_size: 32
  - .args:
      - .address_space:  global
        .offset:         0
        .size:           8
        .value_kind:     global_buffer
      - .address_space:  global
        .offset:         8
        .size:           8
        .value_kind:     global_buffer
      - .address_space:  global
        .offset:         16
        .size:           8
        .value_kind:     global_buffer
      - .address_space:  global
        .offset:         24
        .size:           8
        .value_kind:     global_buffer
      - .offset:         32
        .size:           8
        .value_kind:     by_value
      - .offset:         40
        .size:           8
        .value_kind:     by_value
      - .offset:         48
        .size:           8
        .value_kind:     by_value
      - .offset:         56
        .size:           1
        .value_kind:     by_value
      - .offset:         57
        .size:           1
        .value_kind:     by_value
      - .offset:         64
        .size:           4
        .value_kind:     hidden_block_count_x
      - .offset:         68
        .size:           4
        .value_kind:     hidden_block_count_y
      - .offset:         72
        .size:           4
        .value_kind:     hidden_block_count_z
      - .offset:         76
        .size:           2
        .value_kind:     hidden_group_size_x
      - .offset:         78
        .size:           2
        .value_kind:     hidden_group_size_y
      - .offset:         80
        .size:           2
        .value_kind:     hidden_group_size_z
      - .offset:         82
        .size:           2
        .value_kind:     hidden_remainder_x
      - .offset:         84
        .size:           2
        .value_kind:     hidden_remainder_y
      - .offset:         86
        .size:           2
        .value_kind:     hidden_remainder_z
      - .offset:         104
        .size:           8
        .value_kind:     hidden_global_offset_x
      - .offset:         112
        .size:           8
        .value_kind:     hidden_global_offset_y
      - .offset:         120
        .size:           8
        .value_kind:     hidden_global_offset_z
      - .offset:         128
        .size:           2
        .value_kind:     hidden_grid_dims
    .group_segment_fixed_size: 0
    .kernarg_segment_align: 8
    .kernarg_segment_size: 320
    .language:       OpenCL C
    .language_version:
      - 2
      - 0
    .max_flat_workgroup_size: 1024
    .name:           _ZN2at6native12_GLOBAL__N_124searchsorted_cuda_kernelIfiEEvPT0_PKT_S7_PKllllbb
    .private_segment_fixed_size: 0
    .sgpr_count:     44
    .sgpr_spill_count: 0
    .symbol:         _ZN2at6native12_GLOBAL__N_124searchsorted_cuda_kernelIfiEEvPT0_PKT_S7_PKllllbb.kd
    .uniform_work_group_size: 1
    .uses_dynamic_stack: false
    .vgpr_count:     21
    .vgpr_spill_count: 0
    .wavefront_size: 32
  - .args:
      - .address_space:  global
        .offset:         0
        .size:           8
        .value_kind:     global_buffer
      - .address_space:  global
        .offset:         8
        .size:           8
        .value_kind:     global_buffer
      - .address_space:  global
        .offset:         16
        .size:           8
        .value_kind:     global_buffer
      - .address_space:  global
        .offset:         24
        .size:           8
        .value_kind:     global_buffer
      - .offset:         32
        .size:           8
        .value_kind:     by_value
      - .offset:         40
        .size:           8
        .value_kind:     by_value
      - .offset:         48
        .size:           8
        .value_kind:     by_value
      - .offset:         56
        .size:           1
        .value_kind:     by_value
      - .offset:         57
        .size:           1
        .value_kind:     by_value
      - .offset:         64
        .size:           4
        .value_kind:     hidden_block_count_x
      - .offset:         68
        .size:           4
        .value_kind:     hidden_block_count_y
      - .offset:         72
        .size:           4
        .value_kind:     hidden_block_count_z
      - .offset:         76
        .size:           2
        .value_kind:     hidden_group_size_x
      - .offset:         78
        .size:           2
        .value_kind:     hidden_group_size_y
      - .offset:         80
        .size:           2
        .value_kind:     hidden_group_size_z
      - .offset:         82
        .size:           2
        .value_kind:     hidden_remainder_x
      - .offset:         84
        .size:           2
        .value_kind:     hidden_remainder_y
      - .offset:         86
        .size:           2
        .value_kind:     hidden_remainder_z
      - .offset:         104
        .size:           8
        .value_kind:     hidden_global_offset_x
      - .offset:         112
        .size:           8
        .value_kind:     hidden_global_offset_y
      - .offset:         120
        .size:           8
        .value_kind:     hidden_global_offset_z
      - .offset:         128
        .size:           2
        .value_kind:     hidden_grid_dims
    .group_segment_fixed_size: 0
    .kernarg_segment_align: 8
    .kernarg_segment_size: 320
    .language:       OpenCL C
    .language_version:
      - 2
      - 0
    .max_flat_workgroup_size: 1024
    .name:           _ZN2at6native12_GLOBAL__N_124searchsorted_cuda_kernelIN3c104HalfEiEEvPT0_PKT_S9_PKllllbb
    .private_segment_fixed_size: 0
    .sgpr_count:     44
    .sgpr_spill_count: 0
    .symbol:         _ZN2at6native12_GLOBAL__N_124searchsorted_cuda_kernelIN3c104HalfEiEEvPT0_PKT_S9_PKllllbb.kd
    .uniform_work_group_size: 1
    .uses_dynamic_stack: false
    .vgpr_count:     21
    .vgpr_spill_count: 0
    .wavefront_size: 32
  - .args:
      - .address_space:  global
        .offset:         0
        .size:           8
        .value_kind:     global_buffer
      - .address_space:  global
        .offset:         8
        .size:           8
        .value_kind:     global_buffer
      - .address_space:  global
        .offset:         16
        .size:           8
        .value_kind:     global_buffer
      - .address_space:  global
        .offset:         24
        .size:           8
        .value_kind:     global_buffer
      - .offset:         32
        .size:           8
        .value_kind:     by_value
      - .offset:         40
        .size:           8
        .value_kind:     by_value
      - .offset:         48
        .size:           8
        .value_kind:     by_value
      - .offset:         56
        .size:           1
        .value_kind:     by_value
      - .offset:         57
        .size:           1
        .value_kind:     by_value
      - .offset:         64
        .size:           4
        .value_kind:     hidden_block_count_x
      - .offset:         68
        .size:           4
        .value_kind:     hidden_block_count_y
      - .offset:         72
        .size:           4
        .value_kind:     hidden_block_count_z
      - .offset:         76
        .size:           2
        .value_kind:     hidden_group_size_x
      - .offset:         78
        .size:           2
        .value_kind:     hidden_group_size_y
      - .offset:         80
        .size:           2
        .value_kind:     hidden_group_size_z
      - .offset:         82
        .size:           2
        .value_kind:     hidden_remainder_x
      - .offset:         84
        .size:           2
        .value_kind:     hidden_remainder_y
      - .offset:         86
        .size:           2
        .value_kind:     hidden_remainder_z
      - .offset:         104
        .size:           8
        .value_kind:     hidden_global_offset_x
      - .offset:         112
        .size:           8
        .value_kind:     hidden_global_offset_y
      - .offset:         120
        .size:           8
        .value_kind:     hidden_global_offset_z
      - .offset:         128
        .size:           2
        .value_kind:     hidden_grid_dims
    .group_segment_fixed_size: 0
    .kernarg_segment_align: 8
    .kernarg_segment_size: 320
    .language:       OpenCL C
    .language_version:
      - 2
      - 0
    .max_flat_workgroup_size: 1024
    .name:           _ZN2at6native12_GLOBAL__N_124searchsorted_cuda_kernelIN3c108BFloat16EiEEvPT0_PKT_S9_PKllllbb
    .private_segment_fixed_size: 0
    .sgpr_count:     44
    .sgpr_spill_count: 0
    .symbol:         _ZN2at6native12_GLOBAL__N_124searchsorted_cuda_kernelIN3c108BFloat16EiEEvPT0_PKT_S9_PKllllbb.kd
    .uniform_work_group_size: 1
    .uses_dynamic_stack: false
    .vgpr_count:     21
    .vgpr_spill_count: 0
    .wavefront_size: 32
amdhsa.target:   amdgcn-amd-amdhsa--gfx1250
amdhsa.version:
  - 1
  - 2
...

	.end_amdgpu_metadata
